;; amdgpu-corpus repo=zjin-lcf/HeCBench kind=compiled arch=gfx1100 opt=O3
	.text
	.amdgcn_target "amdgcn-amd-amdhsa--gfx1100"
	.amdhsa_code_object_version 6
	.section	.text._Z8distanceIfEvPKT_S2_iiS2_S2_PS0_,"axG",@progbits,_Z8distanceIfEvPKT_S2_iiS2_S2_PS0_,comdat
	.protected	_Z8distanceIfEvPKT_S2_iiS2_S2_PS0_ ; -- Begin function _Z8distanceIfEvPKT_S2_iiS2_S2_PS0_
	.globl	_Z8distanceIfEvPKT_S2_iiS2_S2_PS0_
	.p2align	8
	.type	_Z8distanceIfEvPKT_S2_iiS2_S2_PS0_,@function
_Z8distanceIfEvPKT_S2_iiS2_S2_PS0_:     ; @_Z8distanceIfEvPKT_S2_iiS2_S2_PS0_
; %bb.0:
	s_load_b128 s[4:7], s[0:1], 0x0
	v_and_b32_e32 v10, 0x3ff, v0
	v_bfe_u32 v9, v0, 10, 10
	s_delay_alu instid0(VALU_DEP_1) | instskip(NEXT) | instid1(VALU_DEP_1)
	v_or_b32_e32 v0, v10, v9
	v_cmp_eq_u32_e64 s2, 0, v0
	s_delay_alu instid0(VALU_DEP_1)
	s_and_saveexec_b32 s3, s2
	s_cbranch_execz .LBB0_2
; %bb.1:
	v_mov_b32_e32 v0, 0
	ds_store_b32 v0, v0 offset:1920
.LBB0_2:
	s_or_b32 exec_lo, exec_lo, s3
	v_lshl_add_u32 v0, s14, 7, v10
	v_lshlrev_b32_e32 v11, 2, v10
	s_delay_alu instid0(VALU_DEP_2) | instskip(NEXT) | instid1(VALU_DEP_1)
	v_ashrrev_i32_e32 v1, 31, v0
	v_lshlrev_b64 v[3:4], 2, v[0:1]
	v_lshl_add_u32 v1, s15, 5, v9
	s_delay_alu instid0(VALU_DEP_1) | instskip(SKIP_1) | instid1(VALU_DEP_3)
	v_ashrrev_i32_e32 v2, 31, v1
	s_waitcnt lgkmcnt(0)
	v_add_co_u32 v7, vcc_lo, s4, v3
	s_delay_alu instid0(VALU_DEP_4)
	v_add_co_ci_u32_e32 v8, vcc_lo, s5, v4, vcc_lo
	s_load_b64 s[4:5], s[0:1], 0x18
	v_lshlrev_b64 v[5:6], 2, v[1:2]
	s_clause 0x3
	global_load_b32 v12, v[7:8], off
	global_load_b32 v13, v[7:8], off offset:128
	global_load_b32 v14, v[7:8], off offset:256
	global_load_b32 v15, v[7:8], off offset:384
	v_lshlrev_b32_e32 v2, 2, v9
	v_cmp_eq_u32_e32 vcc_lo, 0, v10
	s_waitcnt vmcnt(2)
	ds_store_2addr_b32 v11, v12, v13 offset1:32
	s_waitcnt vmcnt(0)
	ds_store_2addr_b32 v11, v14, v15 offset0:64 offset1:96
	v_add_co_u32 v9, s3, s6, v5
	s_delay_alu instid0(VALU_DEP_1)
	v_add_co_ci_u32_e64 v10, s3, s7, v6, s3
	s_and_saveexec_b32 s3, vcc_lo
	s_cbranch_execz .LBB0_4
; %bb.3:
	s_clause 0x3
	global_load_b32 v12, v[9:10], off
	global_load_b32 v13, v[9:10], off offset:32
	global_load_b32 v14, v[9:10], off offset:64
	global_load_b32 v15, v[9:10], off offset:96
	v_add_nc_u32_e32 v16, 0x400, v2
	s_waitcnt vmcnt(2)
	ds_store_2addr_b32 v16, v12, v13 offset0:128 offset1:136
	s_waitcnt vmcnt(0)
	ds_store_2addr_b32 v16, v14, v15 offset0:144 offset1:152
.LBB0_4:
	s_or_b32 exec_lo, exec_lo, s3
	s_load_b64 s[8:9], s[0:1], 0x10
	s_waitcnt lgkmcnt(0)
	s_ashr_i32 s7, s8, 31
	s_mov_b32 s6, s8
	s_delay_alu instid0(SALU_CYCLE_1) | instskip(NEXT) | instid1(SALU_CYCLE_1)
	s_lshl_b64 s[6:7], s[6:7], 2
	v_add_co_u32 v7, s3, v7, s6
	s_delay_alu instid0(VALU_DEP_1)
	v_add_co_ci_u32_e64 v8, s3, s7, v8, s3
	s_clause 0x3
	global_load_b32 v12, v[7:8], off
	global_load_b32 v13, v[7:8], off offset:128
	global_load_b32 v14, v[7:8], off offset:256
	;; [unrolled: 1-line block ×3, first 2 shown]
	s_waitcnt vmcnt(2)
	ds_store_2addr_b32 v11, v12, v13 offset0:128 offset1:160
	s_waitcnt vmcnt(0)
	ds_store_2addr_b32 v11, v14, v7 offset0:192 offset1:224
	s_and_saveexec_b32 s6, vcc_lo
	s_cbranch_execz .LBB0_6
; %bb.5:
	s_ashr_i32 s11, s9, 31
	s_mov_b32 s10, s9
	s_delay_alu instid0(SALU_CYCLE_1) | instskip(NEXT) | instid1(SALU_CYCLE_1)
	s_lshl_b64 s[10:11], s[10:11], 2
	v_add_co_u32 v7, s3, v9, s10
	s_delay_alu instid0(VALU_DEP_1)
	v_add_co_ci_u32_e64 v8, s3, s11, v10, s3
	s_clause 0x3
	global_load_b32 v9, v[7:8], off
	global_load_b32 v10, v[7:8], off offset:32
	global_load_b32 v12, v[7:8], off offset:64
	;; [unrolled: 1-line block ×3, first 2 shown]
	v_add_nc_u32_e32 v8, 0x400, v2
	s_waitcnt vmcnt(2)
	ds_store_2addr_b32 v8, v9, v10 offset0:160 offset1:168
	s_waitcnt vmcnt(0)
	ds_store_2addr_b32 v8, v12, v7 offset0:176 offset1:184
.LBB0_6:
	s_or_b32 exec_lo, exec_lo, s6
	v_add_co_u32 v3, s3, s4, v3
	s_delay_alu instid0(VALU_DEP_1)
	v_add_co_ci_u32_e64 v4, s3, s5, v4, s3
	s_clause 0x3
	global_load_b32 v7, v[3:4], off
	global_load_b32 v8, v[3:4], off offset:128
	global_load_b32 v9, v[3:4], off offset:256
	;; [unrolled: 1-line block ×3, first 2 shown]
	v_add_nc_u32_e32 v4, 0x400, v11
	s_waitcnt vmcnt(2)
	ds_store_2addr_b32 v4, v7, v8 offset1:32
	s_waitcnt vmcnt(0)
	ds_store_2addr_b32 v4, v9, v3 offset0:64 offset1:96
	s_and_saveexec_b32 s3, vcc_lo
	s_cbranch_execz .LBB0_8
; %bb.7:
	s_load_b64 s[4:5], s[0:1], 0x20
	s_waitcnt lgkmcnt(0)
	v_add_co_u32 v3, vcc_lo, s4, v5
	v_add_co_ci_u32_e32 v4, vcc_lo, s5, v6, vcc_lo
	s_clause 0x3
	global_load_b32 v5, v[3:4], off
	global_load_b32 v6, v[3:4], off offset:32
	global_load_b32 v7, v[3:4], off offset:64
	;; [unrolled: 1-line block ×3, first 2 shown]
	v_add_nc_u32_e32 v4, 0x400, v2
	s_waitcnt vmcnt(2)
	ds_store_2addr_b32 v4, v5, v6 offset0:192 offset1:200
	s_waitcnt vmcnt(0)
	ds_store_2addr_b32 v4, v7, v3 offset0:208 offset1:216
.LBB0_8:
	s_or_b32 exec_lo, exec_lo, s3
	v_cmp_gt_i32_e64 s7, s8, v0
	v_cmp_gt_i32_e64 s3, s9, v1
	v_dual_mov_b32 v3, 0 :: v_dual_add_nc_u32 v4, 0x400, v11
	s_waitcnt lgkmcnt(0)
	s_barrier
	s_delay_alu instid0(VALU_DEP_2)
	s_and_b32 s5, s7, s3
	buffer_gl0_inv
	s_and_saveexec_b32 s4, s5
	s_cbranch_execz .LBB0_10
; %bb.9:
	v_add_nc_u32_e32 v3, 0x400, v2
	ds_load_2addr_stride64_b32 v[5:6], v11 offset1:2
	ds_load_2addr_b32 v[7:8], v3 offset0:128 offset1:160
	ds_load_b32 v3, v4
	ds_load_b32 v9, v2 offset:1792
	s_waitcnt lgkmcnt(2)
	v_dual_sub_f32 v6, v6, v8 :: v_dual_sub_f32 v5, v5, v7
	s_waitcnt lgkmcnt(0)
	s_delay_alu instid0(VALU_DEP_1) | instskip(NEXT) | instid1(VALU_DEP_1)
	v_dual_add_f32 v3, v3, v9 :: v_dual_mul_f32 v6, v6, v6
	v_fmac_f32_e32 v6, v5, v5
	s_delay_alu instid0(VALU_DEP_1) | instskip(NEXT) | instid1(VALU_DEP_1)
	v_div_scale_f32 v5, null, v3, v3, -v6
	v_rcp_f32_e32 v7, v5
	s_waitcnt_depctr 0xfff
	v_fma_f32 v8, -v5, v7, 1.0
	s_delay_alu instid0(VALU_DEP_1) | instskip(SKIP_1) | instid1(VALU_DEP_1)
	v_fmac_f32_e32 v7, v8, v7
	v_div_scale_f32 v9, vcc_lo, -v6, v3, -v6
	v_mul_f32_e32 v8, v9, v7
	s_delay_alu instid0(VALU_DEP_1) | instskip(NEXT) | instid1(VALU_DEP_1)
	v_fma_f32 v10, -v5, v8, v9
	v_fmac_f32_e32 v8, v10, v7
	s_delay_alu instid0(VALU_DEP_1) | instskip(NEXT) | instid1(VALU_DEP_1)
	v_fma_f32 v5, -v5, v8, v9
	v_div_fmas_f32 v5, v5, v7, v8
	s_delay_alu instid0(VALU_DEP_1) | instskip(NEXT) | instid1(VALU_DEP_1)
	v_div_fixup_f32 v3, v5, v3, -v6
	v_mul_f32_e32 v5, 0x3fb8aa3b, v3
	v_cmp_ngt_f32_e32 vcc_lo, 0xc2ce8ed0, v3
	s_delay_alu instid0(VALU_DEP_2) | instskip(SKIP_1) | instid1(VALU_DEP_1)
	v_fma_f32 v6, 0x3fb8aa3b, v3, -v5
	v_rndne_f32_e32 v7, v5
	v_dual_fmamk_f32 v6, v3, 0x32a5705f, v6 :: v_dual_sub_f32 v5, v5, v7
	s_delay_alu instid0(VALU_DEP_1) | instskip(SKIP_1) | instid1(VALU_DEP_2)
	v_add_f32_e32 v5, v5, v6
	v_cvt_i32_f32_e32 v6, v7
	v_exp_f32_e32 v5, v5
	s_waitcnt_depctr 0xfff
	v_ldexp_f32 v5, v5, v6
	s_delay_alu instid0(VALU_DEP_1) | instskip(SKIP_1) | instid1(VALU_DEP_2)
	v_cndmask_b32_e32 v5, 0, v5, vcc_lo
	v_cmp_nlt_f32_e32 vcc_lo, 0x42b17218, v3
	v_cndmask_b32_e32 v3, 0x7f800000, v5, vcc_lo
.LBB0_10:
	s_or_b32 exec_lo, exec_lo, s4
	v_add_nc_u32_e32 v5, 8, v1
	s_delay_alu instid0(VALU_DEP_1) | instskip(NEXT) | instid1(VALU_DEP_1)
	v_cmp_gt_i32_e64 s4, s9, v5
	s_and_b32 s6, s7, s4
	s_delay_alu instid0(SALU_CYCLE_1)
	s_and_saveexec_b32 s5, s6
	s_cbranch_execz .LBB0_12
; %bb.11:
	v_add_nc_u32_e32 v7, 0x400, v2
	ds_load_2addr_stride64_b32 v[5:6], v11 offset1:2
	ds_load_2addr_b32 v[7:8], v7 offset0:136 offset1:168
	ds_load_b32 v9, v4
	ds_load_b32 v10, v2 offset:1824
	s_waitcnt lgkmcnt(2)
	v_dual_sub_f32 v6, v6, v8 :: v_dual_sub_f32 v5, v5, v7
	s_waitcnt lgkmcnt(0)
	v_add_f32_e32 v7, v9, v10
	s_delay_alu instid0(VALU_DEP_2) | instskip(NEXT) | instid1(VALU_DEP_1)
	v_mul_f32_e32 v6, v6, v6
	v_fmac_f32_e32 v6, v5, v5
	s_delay_alu instid0(VALU_DEP_1) | instskip(SKIP_1) | instid1(VALU_DEP_2)
	v_div_scale_f32 v5, null, v7, v7, -v6
	v_div_scale_f32 v10, vcc_lo, -v6, v7, -v6
	v_rcp_f32_e32 v8, v5
	s_waitcnt_depctr 0xfff
	v_fma_f32 v9, -v5, v8, 1.0
	s_delay_alu instid0(VALU_DEP_1) | instskip(NEXT) | instid1(VALU_DEP_1)
	v_fmac_f32_e32 v8, v9, v8
	v_mul_f32_e32 v9, v10, v8
	s_delay_alu instid0(VALU_DEP_1) | instskip(NEXT) | instid1(VALU_DEP_1)
	v_fma_f32 v12, -v5, v9, v10
	v_fmac_f32_e32 v9, v12, v8
	s_delay_alu instid0(VALU_DEP_1) | instskip(NEXT) | instid1(VALU_DEP_1)
	v_fma_f32 v5, -v5, v9, v10
	v_div_fmas_f32 v5, v5, v8, v9
	s_delay_alu instid0(VALU_DEP_1) | instskip(NEXT) | instid1(VALU_DEP_1)
	v_div_fixup_f32 v5, v5, v7, -v6
	v_mul_f32_e32 v6, 0x3fb8aa3b, v5
	v_cmp_ngt_f32_e32 vcc_lo, 0xc2ce8ed0, v5
	s_delay_alu instid0(VALU_DEP_2) | instskip(SKIP_1) | instid1(VALU_DEP_1)
	v_fma_f32 v7, 0x3fb8aa3b, v5, -v6
	v_rndne_f32_e32 v8, v6
	v_dual_fmamk_f32 v7, v5, 0x32a5705f, v7 :: v_dual_sub_f32 v6, v6, v8
	s_delay_alu instid0(VALU_DEP_1) | instskip(SKIP_1) | instid1(VALU_DEP_2)
	v_add_f32_e32 v6, v6, v7
	v_cvt_i32_f32_e32 v7, v8
	v_exp_f32_e32 v6, v6
	s_waitcnt_depctr 0xfff
	v_ldexp_f32 v6, v6, v7
	s_delay_alu instid0(VALU_DEP_1) | instskip(SKIP_1) | instid1(VALU_DEP_2)
	v_cndmask_b32_e32 v6, 0, v6, vcc_lo
	v_cmp_nlt_f32_e32 vcc_lo, 0x42b17218, v5
	v_cndmask_b32_e32 v5, 0x7f800000, v6, vcc_lo
	s_delay_alu instid0(VALU_DEP_1)
	v_add_f32_e32 v3, v3, v5
.LBB0_12:
	s_or_b32 exec_lo, exec_lo, s5
	v_add_nc_u32_e32 v5, 16, v1
	s_delay_alu instid0(VALU_DEP_1) | instskip(NEXT) | instid1(VALU_DEP_1)
	v_cmp_gt_i32_e64 s5, s9, v5
	s_and_b32 s10, s7, s5
	s_delay_alu instid0(SALU_CYCLE_1)
	s_and_saveexec_b32 s6, s10
	s_cbranch_execz .LBB0_14
; %bb.13:
	v_add_nc_u32_e32 v7, 0x400, v2
	ds_load_2addr_stride64_b32 v[5:6], v11 offset1:2
	ds_load_2addr_b32 v[7:8], v7 offset0:144 offset1:176
	ds_load_b32 v9, v4
	ds_load_b32 v10, v2 offset:1856
	s_waitcnt lgkmcnt(2)
	v_dual_sub_f32 v6, v6, v8 :: v_dual_sub_f32 v5, v5, v7
	s_waitcnt lgkmcnt(0)
	v_add_f32_e32 v7, v9, v10
	s_delay_alu instid0(VALU_DEP_2) | instskip(NEXT) | instid1(VALU_DEP_1)
	v_mul_f32_e32 v6, v6, v6
	v_fmac_f32_e32 v6, v5, v5
	s_delay_alu instid0(VALU_DEP_1) | instskip(SKIP_1) | instid1(VALU_DEP_2)
	v_div_scale_f32 v5, null, v7, v7, -v6
	v_div_scale_f32 v10, vcc_lo, -v6, v7, -v6
	v_rcp_f32_e32 v8, v5
	s_waitcnt_depctr 0xfff
	v_fma_f32 v9, -v5, v8, 1.0
	s_delay_alu instid0(VALU_DEP_1) | instskip(NEXT) | instid1(VALU_DEP_1)
	v_fmac_f32_e32 v8, v9, v8
	v_mul_f32_e32 v9, v10, v8
	s_delay_alu instid0(VALU_DEP_1) | instskip(NEXT) | instid1(VALU_DEP_1)
	v_fma_f32 v12, -v5, v9, v10
	v_fmac_f32_e32 v9, v12, v8
	s_delay_alu instid0(VALU_DEP_1) | instskip(NEXT) | instid1(VALU_DEP_1)
	v_fma_f32 v5, -v5, v9, v10
	v_div_fmas_f32 v5, v5, v8, v9
	s_delay_alu instid0(VALU_DEP_1) | instskip(NEXT) | instid1(VALU_DEP_1)
	v_div_fixup_f32 v5, v5, v7, -v6
	v_mul_f32_e32 v6, 0x3fb8aa3b, v5
	v_cmp_ngt_f32_e32 vcc_lo, 0xc2ce8ed0, v5
	s_delay_alu instid0(VALU_DEP_2) | instskip(SKIP_1) | instid1(VALU_DEP_1)
	v_fma_f32 v7, 0x3fb8aa3b, v5, -v6
	v_rndne_f32_e32 v8, v6
	v_dual_fmamk_f32 v7, v5, 0x32a5705f, v7 :: v_dual_sub_f32 v6, v6, v8
	s_delay_alu instid0(VALU_DEP_1) | instskip(SKIP_1) | instid1(VALU_DEP_2)
	v_add_f32_e32 v6, v6, v7
	v_cvt_i32_f32_e32 v7, v8
	v_exp_f32_e32 v6, v6
	s_waitcnt_depctr 0xfff
	v_ldexp_f32 v6, v6, v7
	s_delay_alu instid0(VALU_DEP_1) | instskip(SKIP_1) | instid1(VALU_DEP_2)
	v_cndmask_b32_e32 v6, 0, v6, vcc_lo
	v_cmp_nlt_f32_e32 vcc_lo, 0x42b17218, v5
	v_cndmask_b32_e32 v5, 0x7f800000, v6, vcc_lo
	s_delay_alu instid0(VALU_DEP_1)
	v_add_f32_e32 v3, v3, v5
.LBB0_14:
	s_or_b32 exec_lo, exec_lo, s6
	v_add_nc_u32_e32 v1, 24, v1
	s_delay_alu instid0(VALU_DEP_1) | instskip(NEXT) | instid1(VALU_DEP_1)
	v_cmp_gt_i32_e64 s6, s9, v1
	s_and_b32 s9, s7, s6
	s_delay_alu instid0(SALU_CYCLE_1)
	s_and_saveexec_b32 s7, s9
	s_cbranch_execz .LBB0_16
; %bb.15:
	v_add_nc_u32_e32 v1, 0x400, v2
	ds_load_2addr_stride64_b32 v[5:6], v11 offset1:2
	ds_load_2addr_b32 v[7:8], v1 offset0:152 offset1:184
	ds_load_b32 v1, v4
	ds_load_b32 v9, v2 offset:1888
	s_waitcnt lgkmcnt(2)
	v_dual_sub_f32 v6, v6, v8 :: v_dual_sub_f32 v5, v5, v7
	s_waitcnt lgkmcnt(0)
	s_delay_alu instid0(VALU_DEP_1) | instskip(NEXT) | instid1(VALU_DEP_1)
	v_dual_add_f32 v1, v1, v9 :: v_dual_mul_f32 v6, v6, v6
	v_fmac_f32_e32 v6, v5, v5
	s_delay_alu instid0(VALU_DEP_1) | instskip(NEXT) | instid1(VALU_DEP_1)
	v_div_scale_f32 v5, null, v1, v1, -v6
	v_rcp_f32_e32 v7, v5
	s_waitcnt_depctr 0xfff
	v_fma_f32 v8, -v5, v7, 1.0
	s_delay_alu instid0(VALU_DEP_1) | instskip(SKIP_1) | instid1(VALU_DEP_1)
	v_fmac_f32_e32 v7, v8, v7
	v_div_scale_f32 v9, vcc_lo, -v6, v1, -v6
	v_mul_f32_e32 v8, v9, v7
	s_delay_alu instid0(VALU_DEP_1) | instskip(NEXT) | instid1(VALU_DEP_1)
	v_fma_f32 v10, -v5, v8, v9
	v_fmac_f32_e32 v8, v10, v7
	s_delay_alu instid0(VALU_DEP_1) | instskip(NEXT) | instid1(VALU_DEP_1)
	v_fma_f32 v5, -v5, v8, v9
	v_div_fmas_f32 v5, v5, v7, v8
	s_delay_alu instid0(VALU_DEP_1) | instskip(NEXT) | instid1(VALU_DEP_1)
	v_div_fixup_f32 v1, v5, v1, -v6
	v_mul_f32_e32 v5, 0x3fb8aa3b, v1
	v_cmp_ngt_f32_e32 vcc_lo, 0xc2ce8ed0, v1
	s_delay_alu instid0(VALU_DEP_2) | instskip(SKIP_1) | instid1(VALU_DEP_2)
	v_fma_f32 v6, 0x3fb8aa3b, v1, -v5
	v_rndne_f32_e32 v7, v5
	v_fmamk_f32 v6, v1, 0x32a5705f, v6
	s_delay_alu instid0(VALU_DEP_2) | instskip(NEXT) | instid1(VALU_DEP_1)
	v_sub_f32_e32 v5, v5, v7
	v_add_f32_e32 v5, v5, v6
	v_cvt_i32_f32_e32 v6, v7
	s_delay_alu instid0(VALU_DEP_2) | instskip(SKIP_2) | instid1(VALU_DEP_1)
	v_exp_f32_e32 v5, v5
	s_waitcnt_depctr 0xfff
	v_ldexp_f32 v5, v5, v6
	v_cndmask_b32_e32 v5, 0, v5, vcc_lo
	v_cmp_nlt_f32_e32 vcc_lo, 0x42b17218, v1
	s_delay_alu instid0(VALU_DEP_2) | instskip(NEXT) | instid1(VALU_DEP_1)
	v_cndmask_b32_e32 v1, 0x7f800000, v5, vcc_lo
	v_add_f32_e32 v3, v3, v1
.LBB0_16:
	s_or_b32 exec_lo, exec_lo, s7
	v_add_nc_u32_e32 v1, 32, v0
	s_delay_alu instid0(VALU_DEP_1) | instskip(NEXT) | instid1(VALU_DEP_1)
	v_cmp_gt_i32_e64 s7, s8, v1
	s_and_b32 s10, s7, s3
	s_delay_alu instid0(SALU_CYCLE_1)
	s_and_saveexec_b32 s9, s10
	s_cbranch_execnz .LBB0_39
; %bb.17:
	s_or_b32 exec_lo, exec_lo, s9
	s_and_b32 s10, s7, s4
	s_delay_alu instid0(SALU_CYCLE_1)
	s_and_saveexec_b32 s9, s10
	s_cbranch_execnz .LBB0_40
.LBB0_18:
	s_or_b32 exec_lo, exec_lo, s9
	s_and_b32 s10, s7, s5
	s_delay_alu instid0(SALU_CYCLE_1)
	s_and_saveexec_b32 s9, s10
	s_cbranch_execnz .LBB0_41
.LBB0_19:
	s_or_b32 exec_lo, exec_lo, s9
	s_and_b32 s9, s7, s6
	s_delay_alu instid0(SALU_CYCLE_1)
	s_and_saveexec_b32 s7, s9
	s_cbranch_execz .LBB0_21
.LBB0_20:
	v_add_nc_u32_e32 v1, 0x400, v2
	ds_load_2addr_b32 v[5:6], v11 offset0:32 offset1:160
	ds_load_2addr_b32 v[7:8], v1 offset0:152 offset1:184
	ds_load_b32 v1, v4 offset:128
	ds_load_b32 v9, v2 offset:1888
	s_waitcnt lgkmcnt(2)
	v_dual_sub_f32 v6, v6, v8 :: v_dual_sub_f32 v5, v5, v7
	s_waitcnt lgkmcnt(0)
	s_delay_alu instid0(VALU_DEP_1) | instskip(NEXT) | instid1(VALU_DEP_1)
	v_dual_add_f32 v1, v1, v9 :: v_dual_mul_f32 v6, v6, v6
	v_fmac_f32_e32 v6, v5, v5
	s_delay_alu instid0(VALU_DEP_1) | instskip(NEXT) | instid1(VALU_DEP_1)
	v_div_scale_f32 v5, null, v1, v1, -v6
	v_rcp_f32_e32 v7, v5
	s_waitcnt_depctr 0xfff
	v_fma_f32 v8, -v5, v7, 1.0
	s_delay_alu instid0(VALU_DEP_1) | instskip(SKIP_1) | instid1(VALU_DEP_1)
	v_fmac_f32_e32 v7, v8, v7
	v_div_scale_f32 v9, vcc_lo, -v6, v1, -v6
	v_mul_f32_e32 v8, v9, v7
	s_delay_alu instid0(VALU_DEP_1) | instskip(NEXT) | instid1(VALU_DEP_1)
	v_fma_f32 v10, -v5, v8, v9
	v_fmac_f32_e32 v8, v10, v7
	s_delay_alu instid0(VALU_DEP_1) | instskip(NEXT) | instid1(VALU_DEP_1)
	v_fma_f32 v5, -v5, v8, v9
	v_div_fmas_f32 v5, v5, v7, v8
	s_delay_alu instid0(VALU_DEP_1) | instskip(NEXT) | instid1(VALU_DEP_1)
	v_div_fixup_f32 v1, v5, v1, -v6
	v_mul_f32_e32 v5, 0x3fb8aa3b, v1
	v_cmp_ngt_f32_e32 vcc_lo, 0xc2ce8ed0, v1
	s_delay_alu instid0(VALU_DEP_2) | instskip(SKIP_1) | instid1(VALU_DEP_2)
	v_fma_f32 v6, 0x3fb8aa3b, v1, -v5
	v_rndne_f32_e32 v7, v5
	v_fmamk_f32 v6, v1, 0x32a5705f, v6
	s_delay_alu instid0(VALU_DEP_2) | instskip(NEXT) | instid1(VALU_DEP_1)
	v_sub_f32_e32 v5, v5, v7
	v_add_f32_e32 v5, v5, v6
	v_cvt_i32_f32_e32 v6, v7
	s_delay_alu instid0(VALU_DEP_2) | instskip(SKIP_2) | instid1(VALU_DEP_1)
	v_exp_f32_e32 v5, v5
	s_waitcnt_depctr 0xfff
	v_ldexp_f32 v5, v5, v6
	v_cndmask_b32_e32 v5, 0, v5, vcc_lo
	v_cmp_nlt_f32_e32 vcc_lo, 0x42b17218, v1
	s_delay_alu instid0(VALU_DEP_2) | instskip(NEXT) | instid1(VALU_DEP_1)
	v_cndmask_b32_e32 v1, 0x7f800000, v5, vcc_lo
	v_add_f32_e32 v3, v3, v1
.LBB0_21:
	s_or_b32 exec_lo, exec_lo, s7
	v_add_nc_u32_e32 v1, 64, v0
	s_delay_alu instid0(VALU_DEP_1) | instskip(NEXT) | instid1(VALU_DEP_1)
	v_cmp_gt_i32_e64 s7, s8, v1
	s_and_b32 s10, s7, s3
	s_delay_alu instid0(SALU_CYCLE_1)
	s_and_saveexec_b32 s9, s10
	s_cbranch_execnz .LBB0_42
; %bb.22:
	s_or_b32 exec_lo, exec_lo, s9
	s_and_b32 s10, s7, s4
	s_delay_alu instid0(SALU_CYCLE_1)
	s_and_saveexec_b32 s9, s10
	s_cbranch_execnz .LBB0_43
.LBB0_23:
	s_or_b32 exec_lo, exec_lo, s9
	s_and_b32 s10, s7, s5
	s_delay_alu instid0(SALU_CYCLE_1)
	s_and_saveexec_b32 s9, s10
	s_cbranch_execnz .LBB0_44
.LBB0_24:
	s_or_b32 exec_lo, exec_lo, s9
	s_and_b32 s9, s7, s6
	s_delay_alu instid0(SALU_CYCLE_1)
	s_and_saveexec_b32 s7, s9
	s_cbranch_execz .LBB0_26
.LBB0_25:
	v_add_nc_u32_e32 v1, 0x400, v2
	ds_load_2addr_stride64_b32 v[5:6], v11 offset0:1 offset1:3
	ds_load_2addr_b32 v[7:8], v1 offset0:152 offset1:184
	ds_load_b32 v1, v4 offset:256
	ds_load_b32 v9, v2 offset:1888
	s_waitcnt lgkmcnt(2)
	v_dual_sub_f32 v6, v6, v8 :: v_dual_sub_f32 v5, v5, v7
	s_waitcnt lgkmcnt(0)
	s_delay_alu instid0(VALU_DEP_1) | instskip(NEXT) | instid1(VALU_DEP_1)
	v_dual_add_f32 v1, v1, v9 :: v_dual_mul_f32 v6, v6, v6
	v_fmac_f32_e32 v6, v5, v5
	s_delay_alu instid0(VALU_DEP_1) | instskip(NEXT) | instid1(VALU_DEP_1)
	v_div_scale_f32 v5, null, v1, v1, -v6
	v_rcp_f32_e32 v7, v5
	s_waitcnt_depctr 0xfff
	v_fma_f32 v8, -v5, v7, 1.0
	s_delay_alu instid0(VALU_DEP_1) | instskip(SKIP_1) | instid1(VALU_DEP_1)
	v_fmac_f32_e32 v7, v8, v7
	v_div_scale_f32 v9, vcc_lo, -v6, v1, -v6
	v_mul_f32_e32 v8, v9, v7
	s_delay_alu instid0(VALU_DEP_1) | instskip(NEXT) | instid1(VALU_DEP_1)
	v_fma_f32 v10, -v5, v8, v9
	v_fmac_f32_e32 v8, v10, v7
	s_delay_alu instid0(VALU_DEP_1) | instskip(NEXT) | instid1(VALU_DEP_1)
	v_fma_f32 v5, -v5, v8, v9
	v_div_fmas_f32 v5, v5, v7, v8
	s_delay_alu instid0(VALU_DEP_1) | instskip(NEXT) | instid1(VALU_DEP_1)
	v_div_fixup_f32 v1, v5, v1, -v6
	v_mul_f32_e32 v5, 0x3fb8aa3b, v1
	v_cmp_ngt_f32_e32 vcc_lo, 0xc2ce8ed0, v1
	s_delay_alu instid0(VALU_DEP_2) | instskip(SKIP_1) | instid1(VALU_DEP_2)
	v_fma_f32 v6, 0x3fb8aa3b, v1, -v5
	v_rndne_f32_e32 v7, v5
	v_fmamk_f32 v6, v1, 0x32a5705f, v6
	s_delay_alu instid0(VALU_DEP_2) | instskip(NEXT) | instid1(VALU_DEP_1)
	v_sub_f32_e32 v5, v5, v7
	v_add_f32_e32 v5, v5, v6
	v_cvt_i32_f32_e32 v6, v7
	s_delay_alu instid0(VALU_DEP_2) | instskip(SKIP_2) | instid1(VALU_DEP_1)
	v_exp_f32_e32 v5, v5
	s_waitcnt_depctr 0xfff
	v_ldexp_f32 v5, v5, v6
	v_cndmask_b32_e32 v5, 0, v5, vcc_lo
	v_cmp_nlt_f32_e32 vcc_lo, 0x42b17218, v1
	s_delay_alu instid0(VALU_DEP_2) | instskip(NEXT) | instid1(VALU_DEP_1)
	v_cndmask_b32_e32 v1, 0x7f800000, v5, vcc_lo
	v_add_f32_e32 v3, v3, v1
.LBB0_26:
	s_or_b32 exec_lo, exec_lo, s7
	v_add_nc_u32_e32 v0, 0x60, v0
	s_delay_alu instid0(VALU_DEP_1) | instskip(NEXT) | instid1(VALU_DEP_1)
	v_cmp_gt_i32_e64 s7, s8, v0
	s_and_b32 s8, s7, s3
	s_delay_alu instid0(SALU_CYCLE_1)
	s_and_saveexec_b32 s3, s8
	s_cbranch_execnz .LBB0_45
; %bb.27:
	s_or_b32 exec_lo, exec_lo, s3
	s_and_b32 s4, s7, s4
	s_delay_alu instid0(SALU_CYCLE_1)
	s_and_saveexec_b32 s3, s4
	s_cbranch_execnz .LBB0_46
.LBB0_28:
	s_or_b32 exec_lo, exec_lo, s3
	s_and_b32 s4, s7, s5
	s_delay_alu instid0(SALU_CYCLE_1)
	s_and_saveexec_b32 s3, s4
	s_cbranch_execz .LBB0_30
.LBB0_29:
	v_add_nc_u32_e32 v5, 0x400, v2
	ds_load_2addr_b32 v[0:1], v11 offset0:96 offset1:224
	ds_load_2addr_b32 v[5:6], v5 offset0:144 offset1:176
	ds_load_b32 v7, v4 offset:384
	ds_load_b32 v8, v2 offset:1856
	s_waitcnt lgkmcnt(2)
	v_dual_sub_f32 v1, v1, v6 :: v_dual_sub_f32 v0, v0, v5
	s_waitcnt lgkmcnt(0)
	v_add_f32_e32 v5, v7, v8
	s_delay_alu instid0(VALU_DEP_2) | instskip(NEXT) | instid1(VALU_DEP_1)
	v_mul_f32_e32 v1, v1, v1
	v_fmac_f32_e32 v1, v0, v0
	s_delay_alu instid0(VALU_DEP_1) | instskip(SKIP_1) | instid1(VALU_DEP_2)
	v_div_scale_f32 v0, null, v5, v5, -v1
	v_div_scale_f32 v8, vcc_lo, -v1, v5, -v1
	v_rcp_f32_e32 v6, v0
	s_waitcnt_depctr 0xfff
	v_fma_f32 v7, -v0, v6, 1.0
	s_delay_alu instid0(VALU_DEP_1) | instskip(NEXT) | instid1(VALU_DEP_1)
	v_fmac_f32_e32 v6, v7, v6
	v_mul_f32_e32 v7, v8, v6
	s_delay_alu instid0(VALU_DEP_1) | instskip(NEXT) | instid1(VALU_DEP_1)
	v_fma_f32 v9, -v0, v7, v8
	v_fmac_f32_e32 v7, v9, v6
	s_delay_alu instid0(VALU_DEP_1) | instskip(NEXT) | instid1(VALU_DEP_1)
	v_fma_f32 v0, -v0, v7, v8
	v_div_fmas_f32 v0, v0, v6, v7
	s_delay_alu instid0(VALU_DEP_1) | instskip(NEXT) | instid1(VALU_DEP_1)
	v_div_fixup_f32 v0, v0, v5, -v1
	v_mul_f32_e32 v1, 0x3fb8aa3b, v0
	v_cmp_ngt_f32_e32 vcc_lo, 0xc2ce8ed0, v0
	s_delay_alu instid0(VALU_DEP_2) | instskip(SKIP_1) | instid1(VALU_DEP_2)
	v_fma_f32 v5, 0x3fb8aa3b, v0, -v1
	v_rndne_f32_e32 v6, v1
	v_fmamk_f32 v5, v0, 0x32a5705f, v5
	s_delay_alu instid0(VALU_DEP_2) | instskip(NEXT) | instid1(VALU_DEP_1)
	v_sub_f32_e32 v1, v1, v6
	v_add_f32_e32 v1, v1, v5
	v_cvt_i32_f32_e32 v5, v6
	s_delay_alu instid0(VALU_DEP_2) | instskip(SKIP_2) | instid1(VALU_DEP_1)
	v_exp_f32_e32 v1, v1
	s_waitcnt_depctr 0xfff
	v_ldexp_f32 v1, v1, v5
	v_cndmask_b32_e32 v1, 0, v1, vcc_lo
	v_cmp_nlt_f32_e32 vcc_lo, 0x42b17218, v0
	s_delay_alu instid0(VALU_DEP_2) | instskip(NEXT) | instid1(VALU_DEP_1)
	v_cndmask_b32_e32 v0, 0x7f800000, v1, vcc_lo
	v_add_f32_e32 v3, v3, v0
.LBB0_30:
	s_or_b32 exec_lo, exec_lo, s3
	s_load_b64 s[4:5], s[0:1], 0x28
	s_and_b32 s6, s7, s6
	s_delay_alu instid0(SALU_CYCLE_1)
	s_and_saveexec_b32 s3, s6
	s_cbranch_execz .LBB0_32
; %bb.31:
	v_add_nc_u32_e32 v5, 0x400, v2
	ds_load_2addr_b32 v[0:1], v11 offset0:96 offset1:224
	ds_load_2addr_b32 v[5:6], v5 offset0:152 offset1:184
	ds_load_b32 v4, v4 offset:384
	ds_load_b32 v2, v2 offset:1888
	s_waitcnt lgkmcnt(0)
	v_dual_sub_f32 v1, v1, v6 :: v_dual_sub_f32 v0, v0, v5
	s_delay_alu instid0(VALU_DEP_1) | instskip(NEXT) | instid1(VALU_DEP_1)
	v_dual_add_f32 v2, v4, v2 :: v_dual_mul_f32 v1, v1, v1
	v_fmac_f32_e32 v1, v0, v0
	s_delay_alu instid0(VALU_DEP_1) | instskip(SKIP_1) | instid1(VALU_DEP_2)
	v_div_scale_f32 v0, null, v2, v2, -v1
	v_div_scale_f32 v6, vcc_lo, -v1, v2, -v1
	v_rcp_f32_e32 v4, v0
	s_waitcnt_depctr 0xfff
	v_fma_f32 v5, -v0, v4, 1.0
	s_delay_alu instid0(VALU_DEP_1) | instskip(NEXT) | instid1(VALU_DEP_1)
	v_fmac_f32_e32 v4, v5, v4
	v_mul_f32_e32 v5, v6, v4
	s_delay_alu instid0(VALU_DEP_1) | instskip(NEXT) | instid1(VALU_DEP_1)
	v_fma_f32 v7, -v0, v5, v6
	v_fmac_f32_e32 v5, v7, v4
	s_delay_alu instid0(VALU_DEP_1) | instskip(NEXT) | instid1(VALU_DEP_1)
	v_fma_f32 v0, -v0, v5, v6
	v_div_fmas_f32 v0, v0, v4, v5
	s_delay_alu instid0(VALU_DEP_1) | instskip(NEXT) | instid1(VALU_DEP_1)
	v_div_fixup_f32 v0, v0, v2, -v1
	v_mul_f32_e32 v1, 0x3fb8aa3b, v0
	v_cmp_ngt_f32_e32 vcc_lo, 0xc2ce8ed0, v0
	s_delay_alu instid0(VALU_DEP_2) | instskip(SKIP_1) | instid1(VALU_DEP_1)
	v_fma_f32 v2, 0x3fb8aa3b, v0, -v1
	v_rndne_f32_e32 v4, v1
	v_dual_fmamk_f32 v2, v0, 0x32a5705f, v2 :: v_dual_sub_f32 v1, v1, v4
	s_delay_alu instid0(VALU_DEP_1) | instskip(SKIP_1) | instid1(VALU_DEP_2)
	v_add_f32_e32 v1, v1, v2
	v_cvt_i32_f32_e32 v2, v4
	v_exp_f32_e32 v1, v1
	s_waitcnt_depctr 0xfff
	v_ldexp_f32 v1, v1, v2
	s_delay_alu instid0(VALU_DEP_1) | instskip(SKIP_1) | instid1(VALU_DEP_2)
	v_cndmask_b32_e32 v1, 0, v1, vcc_lo
	v_cmp_nlt_f32_e32 vcc_lo, 0x42b17218, v0
	v_cndmask_b32_e32 v0, 0x7f800000, v1, vcc_lo
	s_delay_alu instid0(VALU_DEP_1)
	v_add_f32_e32 v3, v3, v0
.LBB0_32:
	s_or_b32 exec_lo, exec_lo, s3
	v_bfrev_b32_e32 v0, 1
	s_mov_b32 s3, exec_lo
.LBB0_33:                               ; =>This Inner Loop Header: Depth=1
	s_delay_alu instid0(SALU_CYCLE_1) | instskip(NEXT) | instid1(SALU_CYCLE_1)
	s_ctz_i32_b32 s6, s3
	v_readlane_b32 s7, v3, s6
	s_lshl_b32 s6, 1, s6
	s_delay_alu instid0(SALU_CYCLE_1) | instskip(NEXT) | instid1(SALU_CYCLE_1)
	s_and_not1_b32 s3, s3, s6
	s_cmp_lg_u32 s3, 0
	s_delay_alu instid0(VALU_DEP_1)
	v_add_f32_e32 v0, s7, v0
	s_cbranch_scc1 .LBB0_33
; %bb.34:
	v_mbcnt_lo_u32_b32 v1, exec_lo, 0
	s_mov_b32 s3, exec_lo
	s_delay_alu instid0(VALU_DEP_1)
	v_cmpx_eq_u32_e32 0, v1
	s_xor_b32 s3, exec_lo, s3
	s_cbranch_execz .LBB0_36
; %bb.35:
	v_mov_b32_e32 v1, 0
	ds_add_f32 v1, v0 offset:1920
.LBB0_36:
	s_or_b32 exec_lo, exec_lo, s3
	s_waitcnt lgkmcnt(0)
	s_barrier
	buffer_gl0_inv
	s_and_saveexec_b32 s3, s2
	s_cbranch_execz .LBB0_38
; %bb.37:
	s_load_b32 s0, s[0:1], 0x30
	v_mov_b32_e32 v0, 0
	s_mov_b32 s1, 0
	ds_load_b32 v1, v0 offset:1920
	s_waitcnt lgkmcnt(0)
	s_mul_i32 s0, s0, s15
	s_delay_alu instid0(SALU_CYCLE_1) | instskip(NEXT) | instid1(SALU_CYCLE_1)
	s_add_i32 s0, s0, s14
	s_lshl_b64 s[0:1], s[0:1], 2
	s_delay_alu instid0(SALU_CYCLE_1)
	s_add_u32 s0, s4, s0
	s_addc_u32 s1, s5, s1
	global_store_b32 v0, v1, s[0:1]
.LBB0_38:
	s_nop 0
	s_sendmsg sendmsg(MSG_DEALLOC_VGPRS)
	s_endpgm
.LBB0_39:
	v_add_nc_u32_e32 v1, 0x400, v2
	ds_load_2addr_b32 v[5:6], v11 offset0:32 offset1:160
	ds_load_2addr_b32 v[7:8], v1 offset0:128 offset1:160
	ds_load_b32 v1, v4 offset:128
	ds_load_b32 v9, v2 offset:1792
	s_waitcnt lgkmcnt(2)
	v_dual_sub_f32 v6, v6, v8 :: v_dual_sub_f32 v5, v5, v7
	s_waitcnt lgkmcnt(0)
	s_delay_alu instid0(VALU_DEP_1) | instskip(NEXT) | instid1(VALU_DEP_1)
	v_dual_add_f32 v1, v1, v9 :: v_dual_mul_f32 v6, v6, v6
	v_fmac_f32_e32 v6, v5, v5
	s_delay_alu instid0(VALU_DEP_1) | instskip(NEXT) | instid1(VALU_DEP_1)
	v_div_scale_f32 v5, null, v1, v1, -v6
	v_rcp_f32_e32 v7, v5
	s_waitcnt_depctr 0xfff
	v_fma_f32 v8, -v5, v7, 1.0
	s_delay_alu instid0(VALU_DEP_1) | instskip(SKIP_1) | instid1(VALU_DEP_1)
	v_fmac_f32_e32 v7, v8, v7
	v_div_scale_f32 v9, vcc_lo, -v6, v1, -v6
	v_mul_f32_e32 v8, v9, v7
	s_delay_alu instid0(VALU_DEP_1) | instskip(NEXT) | instid1(VALU_DEP_1)
	v_fma_f32 v10, -v5, v8, v9
	v_fmac_f32_e32 v8, v10, v7
	s_delay_alu instid0(VALU_DEP_1) | instskip(NEXT) | instid1(VALU_DEP_1)
	v_fma_f32 v5, -v5, v8, v9
	v_div_fmas_f32 v5, v5, v7, v8
	s_delay_alu instid0(VALU_DEP_1) | instskip(NEXT) | instid1(VALU_DEP_1)
	v_div_fixup_f32 v1, v5, v1, -v6
	v_mul_f32_e32 v5, 0x3fb8aa3b, v1
	v_cmp_ngt_f32_e32 vcc_lo, 0xc2ce8ed0, v1
	s_delay_alu instid0(VALU_DEP_2) | instskip(SKIP_1) | instid1(VALU_DEP_2)
	v_fma_f32 v6, 0x3fb8aa3b, v1, -v5
	v_rndne_f32_e32 v7, v5
	v_fmamk_f32 v6, v1, 0x32a5705f, v6
	s_delay_alu instid0(VALU_DEP_2) | instskip(NEXT) | instid1(VALU_DEP_1)
	v_sub_f32_e32 v5, v5, v7
	v_add_f32_e32 v5, v5, v6
	v_cvt_i32_f32_e32 v6, v7
	s_delay_alu instid0(VALU_DEP_2) | instskip(SKIP_2) | instid1(VALU_DEP_1)
	v_exp_f32_e32 v5, v5
	s_waitcnt_depctr 0xfff
	v_ldexp_f32 v5, v5, v6
	v_cndmask_b32_e32 v5, 0, v5, vcc_lo
	v_cmp_nlt_f32_e32 vcc_lo, 0x42b17218, v1
	s_delay_alu instid0(VALU_DEP_2) | instskip(NEXT) | instid1(VALU_DEP_1)
	v_cndmask_b32_e32 v1, 0x7f800000, v5, vcc_lo
	v_add_f32_e32 v3, v3, v1
	s_or_b32 exec_lo, exec_lo, s9
	s_and_b32 s10, s7, s4
	s_delay_alu instid0(SALU_CYCLE_1)
	s_and_saveexec_b32 s9, s10
	s_cbranch_execz .LBB0_18
.LBB0_40:
	v_add_nc_u32_e32 v1, 0x400, v2
	ds_load_2addr_b32 v[5:6], v11 offset0:32 offset1:160
	ds_load_2addr_b32 v[7:8], v1 offset0:136 offset1:168
	ds_load_b32 v1, v4 offset:128
	ds_load_b32 v9, v2 offset:1824
	s_waitcnt lgkmcnt(2)
	v_dual_sub_f32 v6, v6, v8 :: v_dual_sub_f32 v5, v5, v7
	s_waitcnt lgkmcnt(0)
	s_delay_alu instid0(VALU_DEP_1) | instskip(NEXT) | instid1(VALU_DEP_1)
	v_dual_add_f32 v1, v1, v9 :: v_dual_mul_f32 v6, v6, v6
	v_fmac_f32_e32 v6, v5, v5
	s_delay_alu instid0(VALU_DEP_1) | instskip(NEXT) | instid1(VALU_DEP_1)
	v_div_scale_f32 v5, null, v1, v1, -v6
	v_rcp_f32_e32 v7, v5
	s_waitcnt_depctr 0xfff
	v_fma_f32 v8, -v5, v7, 1.0
	s_delay_alu instid0(VALU_DEP_1) | instskip(SKIP_1) | instid1(VALU_DEP_1)
	v_fmac_f32_e32 v7, v8, v7
	v_div_scale_f32 v9, vcc_lo, -v6, v1, -v6
	v_mul_f32_e32 v8, v9, v7
	s_delay_alu instid0(VALU_DEP_1) | instskip(NEXT) | instid1(VALU_DEP_1)
	v_fma_f32 v10, -v5, v8, v9
	v_fmac_f32_e32 v8, v10, v7
	s_delay_alu instid0(VALU_DEP_1) | instskip(NEXT) | instid1(VALU_DEP_1)
	v_fma_f32 v5, -v5, v8, v9
	v_div_fmas_f32 v5, v5, v7, v8
	s_delay_alu instid0(VALU_DEP_1) | instskip(NEXT) | instid1(VALU_DEP_1)
	v_div_fixup_f32 v1, v5, v1, -v6
	v_mul_f32_e32 v5, 0x3fb8aa3b, v1
	v_cmp_ngt_f32_e32 vcc_lo, 0xc2ce8ed0, v1
	s_delay_alu instid0(VALU_DEP_2) | instskip(SKIP_1) | instid1(VALU_DEP_2)
	v_fma_f32 v6, 0x3fb8aa3b, v1, -v5
	v_rndne_f32_e32 v7, v5
	v_fmamk_f32 v6, v1, 0x32a5705f, v6
	s_delay_alu instid0(VALU_DEP_2) | instskip(NEXT) | instid1(VALU_DEP_1)
	v_sub_f32_e32 v5, v5, v7
	v_add_f32_e32 v5, v5, v6
	v_cvt_i32_f32_e32 v6, v7
	s_delay_alu instid0(VALU_DEP_2) | instskip(SKIP_2) | instid1(VALU_DEP_1)
	v_exp_f32_e32 v5, v5
	s_waitcnt_depctr 0xfff
	v_ldexp_f32 v5, v5, v6
	v_cndmask_b32_e32 v5, 0, v5, vcc_lo
	v_cmp_nlt_f32_e32 vcc_lo, 0x42b17218, v1
	s_delay_alu instid0(VALU_DEP_2) | instskip(NEXT) | instid1(VALU_DEP_1)
	v_cndmask_b32_e32 v1, 0x7f800000, v5, vcc_lo
	v_add_f32_e32 v3, v3, v1
	s_or_b32 exec_lo, exec_lo, s9
	s_and_b32 s10, s7, s5
	s_delay_alu instid0(SALU_CYCLE_1)
	s_and_saveexec_b32 s9, s10
	s_cbranch_execz .LBB0_19
.LBB0_41:
	v_add_nc_u32_e32 v1, 0x400, v2
	ds_load_2addr_b32 v[5:6], v11 offset0:32 offset1:160
	ds_load_2addr_b32 v[7:8], v1 offset0:144 offset1:176
	ds_load_b32 v1, v4 offset:128
	ds_load_b32 v9, v2 offset:1856
	s_waitcnt lgkmcnt(2)
	v_dual_sub_f32 v6, v6, v8 :: v_dual_sub_f32 v5, v5, v7
	s_waitcnt lgkmcnt(0)
	s_delay_alu instid0(VALU_DEP_1) | instskip(NEXT) | instid1(VALU_DEP_1)
	v_dual_add_f32 v1, v1, v9 :: v_dual_mul_f32 v6, v6, v6
	v_fmac_f32_e32 v6, v5, v5
	s_delay_alu instid0(VALU_DEP_1) | instskip(NEXT) | instid1(VALU_DEP_1)
	v_div_scale_f32 v5, null, v1, v1, -v6
	v_rcp_f32_e32 v7, v5
	s_waitcnt_depctr 0xfff
	v_fma_f32 v8, -v5, v7, 1.0
	s_delay_alu instid0(VALU_DEP_1) | instskip(SKIP_1) | instid1(VALU_DEP_1)
	v_fmac_f32_e32 v7, v8, v7
	v_div_scale_f32 v9, vcc_lo, -v6, v1, -v6
	v_mul_f32_e32 v8, v9, v7
	s_delay_alu instid0(VALU_DEP_1) | instskip(NEXT) | instid1(VALU_DEP_1)
	v_fma_f32 v10, -v5, v8, v9
	v_fmac_f32_e32 v8, v10, v7
	s_delay_alu instid0(VALU_DEP_1) | instskip(NEXT) | instid1(VALU_DEP_1)
	v_fma_f32 v5, -v5, v8, v9
	v_div_fmas_f32 v5, v5, v7, v8
	s_delay_alu instid0(VALU_DEP_1) | instskip(NEXT) | instid1(VALU_DEP_1)
	v_div_fixup_f32 v1, v5, v1, -v6
	v_mul_f32_e32 v5, 0x3fb8aa3b, v1
	v_cmp_ngt_f32_e32 vcc_lo, 0xc2ce8ed0, v1
	s_delay_alu instid0(VALU_DEP_2) | instskip(SKIP_1) | instid1(VALU_DEP_2)
	v_fma_f32 v6, 0x3fb8aa3b, v1, -v5
	v_rndne_f32_e32 v7, v5
	v_fmamk_f32 v6, v1, 0x32a5705f, v6
	s_delay_alu instid0(VALU_DEP_2) | instskip(NEXT) | instid1(VALU_DEP_1)
	v_sub_f32_e32 v5, v5, v7
	v_add_f32_e32 v5, v5, v6
	v_cvt_i32_f32_e32 v6, v7
	s_delay_alu instid0(VALU_DEP_2) | instskip(SKIP_2) | instid1(VALU_DEP_1)
	v_exp_f32_e32 v5, v5
	s_waitcnt_depctr 0xfff
	v_ldexp_f32 v5, v5, v6
	v_cndmask_b32_e32 v5, 0, v5, vcc_lo
	v_cmp_nlt_f32_e32 vcc_lo, 0x42b17218, v1
	s_delay_alu instid0(VALU_DEP_2) | instskip(NEXT) | instid1(VALU_DEP_1)
	v_cndmask_b32_e32 v1, 0x7f800000, v5, vcc_lo
	v_add_f32_e32 v3, v3, v1
	s_or_b32 exec_lo, exec_lo, s9
	s_and_b32 s9, s7, s6
	s_delay_alu instid0(SALU_CYCLE_1)
	s_and_saveexec_b32 s7, s9
	s_cbranch_execnz .LBB0_20
	s_branch .LBB0_21
.LBB0_42:
	v_add_nc_u32_e32 v1, 0x400, v2
	ds_load_2addr_stride64_b32 v[5:6], v11 offset0:1 offset1:3
	ds_load_2addr_b32 v[7:8], v1 offset0:128 offset1:160
	ds_load_b32 v1, v4 offset:256
	ds_load_b32 v9, v2 offset:1792
	s_waitcnt lgkmcnt(2)
	v_dual_sub_f32 v6, v6, v8 :: v_dual_sub_f32 v5, v5, v7
	s_waitcnt lgkmcnt(0)
	s_delay_alu instid0(VALU_DEP_1) | instskip(NEXT) | instid1(VALU_DEP_1)
	v_dual_add_f32 v1, v1, v9 :: v_dual_mul_f32 v6, v6, v6
	v_fmac_f32_e32 v6, v5, v5
	s_delay_alu instid0(VALU_DEP_1) | instskip(NEXT) | instid1(VALU_DEP_1)
	v_div_scale_f32 v5, null, v1, v1, -v6
	v_rcp_f32_e32 v7, v5
	s_waitcnt_depctr 0xfff
	v_fma_f32 v8, -v5, v7, 1.0
	s_delay_alu instid0(VALU_DEP_1) | instskip(SKIP_1) | instid1(VALU_DEP_1)
	v_fmac_f32_e32 v7, v8, v7
	v_div_scale_f32 v9, vcc_lo, -v6, v1, -v6
	v_mul_f32_e32 v8, v9, v7
	s_delay_alu instid0(VALU_DEP_1) | instskip(NEXT) | instid1(VALU_DEP_1)
	v_fma_f32 v10, -v5, v8, v9
	v_fmac_f32_e32 v8, v10, v7
	s_delay_alu instid0(VALU_DEP_1) | instskip(NEXT) | instid1(VALU_DEP_1)
	v_fma_f32 v5, -v5, v8, v9
	v_div_fmas_f32 v5, v5, v7, v8
	s_delay_alu instid0(VALU_DEP_1) | instskip(NEXT) | instid1(VALU_DEP_1)
	v_div_fixup_f32 v1, v5, v1, -v6
	v_mul_f32_e32 v5, 0x3fb8aa3b, v1
	v_cmp_ngt_f32_e32 vcc_lo, 0xc2ce8ed0, v1
	s_delay_alu instid0(VALU_DEP_2) | instskip(SKIP_1) | instid1(VALU_DEP_2)
	v_fma_f32 v6, 0x3fb8aa3b, v1, -v5
	v_rndne_f32_e32 v7, v5
	v_fmamk_f32 v6, v1, 0x32a5705f, v6
	s_delay_alu instid0(VALU_DEP_2) | instskip(NEXT) | instid1(VALU_DEP_1)
	v_sub_f32_e32 v5, v5, v7
	v_add_f32_e32 v5, v5, v6
	v_cvt_i32_f32_e32 v6, v7
	s_delay_alu instid0(VALU_DEP_2) | instskip(SKIP_2) | instid1(VALU_DEP_1)
	v_exp_f32_e32 v5, v5
	s_waitcnt_depctr 0xfff
	v_ldexp_f32 v5, v5, v6
	v_cndmask_b32_e32 v5, 0, v5, vcc_lo
	v_cmp_nlt_f32_e32 vcc_lo, 0x42b17218, v1
	s_delay_alu instid0(VALU_DEP_2) | instskip(NEXT) | instid1(VALU_DEP_1)
	v_cndmask_b32_e32 v1, 0x7f800000, v5, vcc_lo
	v_add_f32_e32 v3, v3, v1
	s_or_b32 exec_lo, exec_lo, s9
	s_and_b32 s10, s7, s4
	s_delay_alu instid0(SALU_CYCLE_1)
	s_and_saveexec_b32 s9, s10
	s_cbranch_execz .LBB0_23
.LBB0_43:
	v_add_nc_u32_e32 v1, 0x400, v2
	ds_load_2addr_stride64_b32 v[5:6], v11 offset0:1 offset1:3
	ds_load_2addr_b32 v[7:8], v1 offset0:136 offset1:168
	ds_load_b32 v1, v4 offset:256
	ds_load_b32 v9, v2 offset:1824
	s_waitcnt lgkmcnt(2)
	v_dual_sub_f32 v6, v6, v8 :: v_dual_sub_f32 v5, v5, v7
	s_waitcnt lgkmcnt(0)
	s_delay_alu instid0(VALU_DEP_1) | instskip(NEXT) | instid1(VALU_DEP_1)
	v_dual_add_f32 v1, v1, v9 :: v_dual_mul_f32 v6, v6, v6
	v_fmac_f32_e32 v6, v5, v5
	s_delay_alu instid0(VALU_DEP_1) | instskip(NEXT) | instid1(VALU_DEP_1)
	v_div_scale_f32 v5, null, v1, v1, -v6
	v_rcp_f32_e32 v7, v5
	s_waitcnt_depctr 0xfff
	v_fma_f32 v8, -v5, v7, 1.0
	s_delay_alu instid0(VALU_DEP_1) | instskip(SKIP_1) | instid1(VALU_DEP_1)
	v_fmac_f32_e32 v7, v8, v7
	v_div_scale_f32 v9, vcc_lo, -v6, v1, -v6
	v_mul_f32_e32 v8, v9, v7
	s_delay_alu instid0(VALU_DEP_1) | instskip(NEXT) | instid1(VALU_DEP_1)
	v_fma_f32 v10, -v5, v8, v9
	v_fmac_f32_e32 v8, v10, v7
	s_delay_alu instid0(VALU_DEP_1) | instskip(NEXT) | instid1(VALU_DEP_1)
	v_fma_f32 v5, -v5, v8, v9
	v_div_fmas_f32 v5, v5, v7, v8
	s_delay_alu instid0(VALU_DEP_1) | instskip(NEXT) | instid1(VALU_DEP_1)
	v_div_fixup_f32 v1, v5, v1, -v6
	v_mul_f32_e32 v5, 0x3fb8aa3b, v1
	v_cmp_ngt_f32_e32 vcc_lo, 0xc2ce8ed0, v1
	s_delay_alu instid0(VALU_DEP_2) | instskip(SKIP_1) | instid1(VALU_DEP_2)
	v_fma_f32 v6, 0x3fb8aa3b, v1, -v5
	v_rndne_f32_e32 v7, v5
	v_fmamk_f32 v6, v1, 0x32a5705f, v6
	s_delay_alu instid0(VALU_DEP_2) | instskip(NEXT) | instid1(VALU_DEP_1)
	v_sub_f32_e32 v5, v5, v7
	v_add_f32_e32 v5, v5, v6
	v_cvt_i32_f32_e32 v6, v7
	s_delay_alu instid0(VALU_DEP_2) | instskip(SKIP_2) | instid1(VALU_DEP_1)
	v_exp_f32_e32 v5, v5
	s_waitcnt_depctr 0xfff
	v_ldexp_f32 v5, v5, v6
	v_cndmask_b32_e32 v5, 0, v5, vcc_lo
	v_cmp_nlt_f32_e32 vcc_lo, 0x42b17218, v1
	s_delay_alu instid0(VALU_DEP_2) | instskip(NEXT) | instid1(VALU_DEP_1)
	v_cndmask_b32_e32 v1, 0x7f800000, v5, vcc_lo
	v_add_f32_e32 v3, v3, v1
	s_or_b32 exec_lo, exec_lo, s9
	s_and_b32 s10, s7, s5
	s_delay_alu instid0(SALU_CYCLE_1)
	s_and_saveexec_b32 s9, s10
	s_cbranch_execz .LBB0_24
.LBB0_44:
	v_add_nc_u32_e32 v1, 0x400, v2
	ds_load_2addr_stride64_b32 v[5:6], v11 offset0:1 offset1:3
	ds_load_2addr_b32 v[7:8], v1 offset0:144 offset1:176
	ds_load_b32 v1, v4 offset:256
	ds_load_b32 v9, v2 offset:1856
	s_waitcnt lgkmcnt(2)
	v_dual_sub_f32 v6, v6, v8 :: v_dual_sub_f32 v5, v5, v7
	s_waitcnt lgkmcnt(0)
	s_delay_alu instid0(VALU_DEP_1) | instskip(NEXT) | instid1(VALU_DEP_1)
	v_dual_add_f32 v1, v1, v9 :: v_dual_mul_f32 v6, v6, v6
	v_fmac_f32_e32 v6, v5, v5
	s_delay_alu instid0(VALU_DEP_1) | instskip(NEXT) | instid1(VALU_DEP_1)
	v_div_scale_f32 v5, null, v1, v1, -v6
	v_rcp_f32_e32 v7, v5
	s_waitcnt_depctr 0xfff
	v_fma_f32 v8, -v5, v7, 1.0
	s_delay_alu instid0(VALU_DEP_1) | instskip(SKIP_1) | instid1(VALU_DEP_1)
	v_fmac_f32_e32 v7, v8, v7
	v_div_scale_f32 v9, vcc_lo, -v6, v1, -v6
	v_mul_f32_e32 v8, v9, v7
	s_delay_alu instid0(VALU_DEP_1) | instskip(NEXT) | instid1(VALU_DEP_1)
	v_fma_f32 v10, -v5, v8, v9
	v_fmac_f32_e32 v8, v10, v7
	s_delay_alu instid0(VALU_DEP_1) | instskip(NEXT) | instid1(VALU_DEP_1)
	v_fma_f32 v5, -v5, v8, v9
	v_div_fmas_f32 v5, v5, v7, v8
	s_delay_alu instid0(VALU_DEP_1) | instskip(NEXT) | instid1(VALU_DEP_1)
	v_div_fixup_f32 v1, v5, v1, -v6
	v_mul_f32_e32 v5, 0x3fb8aa3b, v1
	v_cmp_ngt_f32_e32 vcc_lo, 0xc2ce8ed0, v1
	s_delay_alu instid0(VALU_DEP_2) | instskip(SKIP_1) | instid1(VALU_DEP_2)
	v_fma_f32 v6, 0x3fb8aa3b, v1, -v5
	v_rndne_f32_e32 v7, v5
	v_fmamk_f32 v6, v1, 0x32a5705f, v6
	s_delay_alu instid0(VALU_DEP_2) | instskip(NEXT) | instid1(VALU_DEP_1)
	v_sub_f32_e32 v5, v5, v7
	v_add_f32_e32 v5, v5, v6
	v_cvt_i32_f32_e32 v6, v7
	s_delay_alu instid0(VALU_DEP_2) | instskip(SKIP_2) | instid1(VALU_DEP_1)
	v_exp_f32_e32 v5, v5
	s_waitcnt_depctr 0xfff
	v_ldexp_f32 v5, v5, v6
	v_cndmask_b32_e32 v5, 0, v5, vcc_lo
	v_cmp_nlt_f32_e32 vcc_lo, 0x42b17218, v1
	s_delay_alu instid0(VALU_DEP_2) | instskip(NEXT) | instid1(VALU_DEP_1)
	v_cndmask_b32_e32 v1, 0x7f800000, v5, vcc_lo
	v_add_f32_e32 v3, v3, v1
	s_or_b32 exec_lo, exec_lo, s9
	s_and_b32 s9, s7, s6
	s_delay_alu instid0(SALU_CYCLE_1)
	s_and_saveexec_b32 s7, s9
	s_cbranch_execnz .LBB0_25
	s_branch .LBB0_26
.LBB0_45:
	v_add_nc_u32_e32 v5, 0x400, v2
	ds_load_2addr_b32 v[0:1], v11 offset0:96 offset1:224
	ds_load_2addr_b32 v[5:6], v5 offset0:128 offset1:160
	ds_load_b32 v7, v4 offset:384
	ds_load_b32 v8, v2 offset:1792
	s_waitcnt lgkmcnt(2)
	v_dual_sub_f32 v1, v1, v6 :: v_dual_sub_f32 v0, v0, v5
	s_waitcnt lgkmcnt(0)
	v_add_f32_e32 v5, v7, v8
	s_delay_alu instid0(VALU_DEP_2) | instskip(NEXT) | instid1(VALU_DEP_1)
	v_mul_f32_e32 v1, v1, v1
	v_fmac_f32_e32 v1, v0, v0
	s_delay_alu instid0(VALU_DEP_1) | instskip(SKIP_1) | instid1(VALU_DEP_2)
	v_div_scale_f32 v0, null, v5, v5, -v1
	v_div_scale_f32 v8, vcc_lo, -v1, v5, -v1
	v_rcp_f32_e32 v6, v0
	s_waitcnt_depctr 0xfff
	v_fma_f32 v7, -v0, v6, 1.0
	s_delay_alu instid0(VALU_DEP_1) | instskip(NEXT) | instid1(VALU_DEP_1)
	v_fmac_f32_e32 v6, v7, v6
	v_mul_f32_e32 v7, v8, v6
	s_delay_alu instid0(VALU_DEP_1) | instskip(NEXT) | instid1(VALU_DEP_1)
	v_fma_f32 v9, -v0, v7, v8
	v_fmac_f32_e32 v7, v9, v6
	s_delay_alu instid0(VALU_DEP_1) | instskip(NEXT) | instid1(VALU_DEP_1)
	v_fma_f32 v0, -v0, v7, v8
	v_div_fmas_f32 v0, v0, v6, v7
	s_delay_alu instid0(VALU_DEP_1) | instskip(NEXT) | instid1(VALU_DEP_1)
	v_div_fixup_f32 v0, v0, v5, -v1
	v_mul_f32_e32 v1, 0x3fb8aa3b, v0
	v_cmp_ngt_f32_e32 vcc_lo, 0xc2ce8ed0, v0
	s_delay_alu instid0(VALU_DEP_2) | instskip(SKIP_1) | instid1(VALU_DEP_2)
	v_fma_f32 v5, 0x3fb8aa3b, v0, -v1
	v_rndne_f32_e32 v6, v1
	v_fmamk_f32 v5, v0, 0x32a5705f, v5
	s_delay_alu instid0(VALU_DEP_2) | instskip(NEXT) | instid1(VALU_DEP_1)
	v_sub_f32_e32 v1, v1, v6
	v_add_f32_e32 v1, v1, v5
	v_cvt_i32_f32_e32 v5, v6
	s_delay_alu instid0(VALU_DEP_2) | instskip(SKIP_2) | instid1(VALU_DEP_1)
	v_exp_f32_e32 v1, v1
	s_waitcnt_depctr 0xfff
	v_ldexp_f32 v1, v1, v5
	v_cndmask_b32_e32 v1, 0, v1, vcc_lo
	v_cmp_nlt_f32_e32 vcc_lo, 0x42b17218, v0
	s_delay_alu instid0(VALU_DEP_2) | instskip(NEXT) | instid1(VALU_DEP_1)
	v_cndmask_b32_e32 v0, 0x7f800000, v1, vcc_lo
	v_add_f32_e32 v3, v3, v0
	s_or_b32 exec_lo, exec_lo, s3
	s_and_b32 s4, s7, s4
	s_delay_alu instid0(SALU_CYCLE_1)
	s_and_saveexec_b32 s3, s4
	s_cbranch_execz .LBB0_28
.LBB0_46:
	v_add_nc_u32_e32 v5, 0x400, v2
	ds_load_2addr_b32 v[0:1], v11 offset0:96 offset1:224
	ds_load_2addr_b32 v[5:6], v5 offset0:136 offset1:168
	ds_load_b32 v7, v4 offset:384
	ds_load_b32 v8, v2 offset:1824
	s_waitcnt lgkmcnt(2)
	v_dual_sub_f32 v1, v1, v6 :: v_dual_sub_f32 v0, v0, v5
	s_waitcnt lgkmcnt(0)
	v_add_f32_e32 v5, v7, v8
	s_delay_alu instid0(VALU_DEP_2) | instskip(NEXT) | instid1(VALU_DEP_1)
	v_mul_f32_e32 v1, v1, v1
	v_fmac_f32_e32 v1, v0, v0
	s_delay_alu instid0(VALU_DEP_1) | instskip(SKIP_1) | instid1(VALU_DEP_2)
	v_div_scale_f32 v0, null, v5, v5, -v1
	v_div_scale_f32 v8, vcc_lo, -v1, v5, -v1
	v_rcp_f32_e32 v6, v0
	s_waitcnt_depctr 0xfff
	v_fma_f32 v7, -v0, v6, 1.0
	s_delay_alu instid0(VALU_DEP_1) | instskip(NEXT) | instid1(VALU_DEP_1)
	v_fmac_f32_e32 v6, v7, v6
	v_mul_f32_e32 v7, v8, v6
	s_delay_alu instid0(VALU_DEP_1) | instskip(NEXT) | instid1(VALU_DEP_1)
	v_fma_f32 v9, -v0, v7, v8
	v_fmac_f32_e32 v7, v9, v6
	s_delay_alu instid0(VALU_DEP_1) | instskip(NEXT) | instid1(VALU_DEP_1)
	v_fma_f32 v0, -v0, v7, v8
	v_div_fmas_f32 v0, v0, v6, v7
	s_delay_alu instid0(VALU_DEP_1) | instskip(NEXT) | instid1(VALU_DEP_1)
	v_div_fixup_f32 v0, v0, v5, -v1
	v_mul_f32_e32 v1, 0x3fb8aa3b, v0
	v_cmp_ngt_f32_e32 vcc_lo, 0xc2ce8ed0, v0
	s_delay_alu instid0(VALU_DEP_2) | instskip(SKIP_1) | instid1(VALU_DEP_2)
	v_fma_f32 v5, 0x3fb8aa3b, v0, -v1
	v_rndne_f32_e32 v6, v1
	v_fmamk_f32 v5, v0, 0x32a5705f, v5
	s_delay_alu instid0(VALU_DEP_2) | instskip(NEXT) | instid1(VALU_DEP_1)
	v_sub_f32_e32 v1, v1, v6
	v_add_f32_e32 v1, v1, v5
	v_cvt_i32_f32_e32 v5, v6
	s_delay_alu instid0(VALU_DEP_2) | instskip(SKIP_2) | instid1(VALU_DEP_1)
	v_exp_f32_e32 v1, v1
	s_waitcnt_depctr 0xfff
	v_ldexp_f32 v1, v1, v5
	v_cndmask_b32_e32 v1, 0, v1, vcc_lo
	v_cmp_nlt_f32_e32 vcc_lo, 0x42b17218, v0
	s_delay_alu instid0(VALU_DEP_2) | instskip(NEXT) | instid1(VALU_DEP_1)
	v_cndmask_b32_e32 v0, 0x7f800000, v1, vcc_lo
	v_add_f32_e32 v3, v3, v0
	s_or_b32 exec_lo, exec_lo, s3
	s_and_b32 s4, s7, s5
	s_delay_alu instid0(SALU_CYCLE_1)
	s_and_saveexec_b32 s3, s4
	s_cbranch_execnz .LBB0_29
	s_branch .LBB0_30
	.section	.rodata,"a",@progbits
	.p2align	6, 0x0
	.amdhsa_kernel _Z8distanceIfEvPKT_S2_iiS2_S2_PS0_
		.amdhsa_group_segment_fixed_size 1924
		.amdhsa_private_segment_fixed_size 0
		.amdhsa_kernarg_size 304
		.amdhsa_user_sgpr_count 14
		.amdhsa_user_sgpr_dispatch_ptr 0
		.amdhsa_user_sgpr_queue_ptr 0
		.amdhsa_user_sgpr_kernarg_segment_ptr 1
		.amdhsa_user_sgpr_dispatch_id 0
		.amdhsa_user_sgpr_private_segment_size 0
		.amdhsa_wavefront_size32 1
		.amdhsa_uses_dynamic_stack 0
		.amdhsa_enable_private_segment 0
		.amdhsa_system_sgpr_workgroup_id_x 1
		.amdhsa_system_sgpr_workgroup_id_y 1
		.amdhsa_system_sgpr_workgroup_id_z 0
		.amdhsa_system_sgpr_workgroup_info 0
		.amdhsa_system_vgpr_workitem_id 1
		.amdhsa_next_free_vgpr 17
		.amdhsa_next_free_sgpr 16
		.amdhsa_reserve_vcc 1
		.amdhsa_float_round_mode_32 0
		.amdhsa_float_round_mode_16_64 0
		.amdhsa_float_denorm_mode_32 3
		.amdhsa_float_denorm_mode_16_64 3
		.amdhsa_dx10_clamp 1
		.amdhsa_ieee_mode 1
		.amdhsa_fp16_overflow 0
		.amdhsa_workgroup_processor_mode 1
		.amdhsa_memory_ordered 1
		.amdhsa_forward_progress 0
		.amdhsa_shared_vgpr_count 0
		.amdhsa_exception_fp_ieee_invalid_op 0
		.amdhsa_exception_fp_denorm_src 0
		.amdhsa_exception_fp_ieee_div_zero 0
		.amdhsa_exception_fp_ieee_overflow 0
		.amdhsa_exception_fp_ieee_underflow 0
		.amdhsa_exception_fp_ieee_inexact 0
		.amdhsa_exception_int_div_zero 0
	.end_amdhsa_kernel
	.section	.text._Z8distanceIfEvPKT_S2_iiS2_S2_PS0_,"axG",@progbits,_Z8distanceIfEvPKT_S2_iiS2_S2_PS0_,comdat
.Lfunc_end0:
	.size	_Z8distanceIfEvPKT_S2_iiS2_S2_PS0_, .Lfunc_end0-_Z8distanceIfEvPKT_S2_iiS2_S2_PS0_
                                        ; -- End function
	.section	.AMDGPU.csdata,"",@progbits
; Kernel info:
; codeLenInByte = 5976
; NumSgprs: 18
; NumVgprs: 17
; ScratchSize: 0
; MemoryBound: 0
; FloatMode: 240
; IeeeMode: 1
; LDSByteSize: 1924 bytes/workgroup (compile time only)
; SGPRBlocks: 2
; VGPRBlocks: 2
; NumSGPRsForWavesPerEU: 18
; NumVGPRsForWavesPerEU: 17
; Occupancy: 16
; WaveLimiterHint : 1
; COMPUTE_PGM_RSRC2:SCRATCH_EN: 0
; COMPUTE_PGM_RSRC2:USER_SGPR: 14
; COMPUTE_PGM_RSRC2:TRAP_HANDLER: 0
; COMPUTE_PGM_RSRC2:TGID_X_EN: 1
; COMPUTE_PGM_RSRC2:TGID_Y_EN: 1
; COMPUTE_PGM_RSRC2:TGID_Z_EN: 0
; COMPUTE_PGM_RSRC2:TIDIG_COMP_CNT: 1
	.section	.text._Z17reduce_cross_termIfEvPT_PKS0_iii,"axG",@progbits,_Z17reduce_cross_termIfEvPT_PKS0_iii,comdat
	.protected	_Z17reduce_cross_termIfEvPT_PKS0_iii ; -- Begin function _Z17reduce_cross_termIfEvPT_PKS0_iii
	.globl	_Z17reduce_cross_termIfEvPT_PKS0_iii
	.p2align	8
	.type	_Z17reduce_cross_termIfEvPT_PKS0_iii,@function
_Z17reduce_cross_termIfEvPT_PKS0_iii:   ; @_Z17reduce_cross_termIfEvPT_PKS0_iii
; %bb.0:
	v_cmp_eq_u32_e32 vcc_lo, 0, v0
	s_and_saveexec_b32 s2, vcc_lo
	s_cbranch_execz .LBB1_2
; %bb.1:
	v_mov_b32_e32 v1, 0
	ds_store_b32 v1, v1
.LBB1_2:
	s_or_b32 exec_lo, exec_lo, s2
	s_clause 0x1
	s_load_b32 s3, s[0:1], 0x18
	s_load_b64 s[4:5], s[0:1], 0x0
	v_mov_b32_e32 v3, 0
	s_mov_b32 s6, exec_lo
	s_waitcnt lgkmcnt(0)
	s_barrier
	buffer_gl0_inv
	v_cmpx_gt_i32_e64 s3, v0
	s_cbranch_execz .LBB1_6
; %bb.3:
	s_load_b64 s[0:1], s[0:1], 0x8
	v_lshlrev_b32_e32 v1, 2, v0
	v_mov_b32_e32 v3, 0
	s_mov_b32 s2, 0
	s_waitcnt lgkmcnt(0)
	s_delay_alu instid0(VALU_DEP_2) | instskip(NEXT) | instid1(VALU_DEP_1)
	v_add_co_u32 v1, s0, s0, v1
	v_add_co_ci_u32_e64 v2, null, s1, 0, s0
.LBB1_4:                                ; =>This Inner Loop Header: Depth=1
	global_load_b32 v4, v[1:2], off
	v_add_nc_u32_e32 v0, 0x100, v0
	v_add_co_u32 v1, s0, 0x400, v1
	s_delay_alu instid0(VALU_DEP_1) | instskip(NEXT) | instid1(VALU_DEP_3)
	v_add_co_ci_u32_e64 v2, s0, 0, v2, s0
	v_cmp_le_i32_e64 s1, s3, v0
	s_delay_alu instid0(VALU_DEP_1)
	s_or_b32 s2, s1, s2
	s_waitcnt vmcnt(0)
	v_add_f32_e32 v3, v3, v4
	s_and_not1_b32 exec_lo, exec_lo, s2
	s_cbranch_execnz .LBB1_4
; %bb.5:
	s_or_b32 exec_lo, exec_lo, s2
.LBB1_6:
	s_delay_alu instid0(SALU_CYCLE_1)
	s_or_b32 exec_lo, exec_lo, s6
	v_bfrev_b32_e32 v0, 1
	s_mov_b32 s0, exec_lo
.LBB1_7:                                ; =>This Inner Loop Header: Depth=1
	s_delay_alu instid0(SALU_CYCLE_1) | instskip(NEXT) | instid1(SALU_CYCLE_1)
	s_ctz_i32_b32 s1, s0
	v_readlane_b32 s2, v3, s1
	s_lshl_b32 s1, 1, s1
	s_delay_alu instid0(SALU_CYCLE_1) | instskip(NEXT) | instid1(SALU_CYCLE_1)
	s_and_not1_b32 s0, s0, s1
	s_cmp_lg_u32 s0, 0
	s_delay_alu instid0(VALU_DEP_1)
	v_add_f32_e32 v0, s2, v0
	s_cbranch_scc1 .LBB1_7
; %bb.8:
	v_mbcnt_lo_u32_b32 v1, exec_lo, 0
	s_delay_alu instid0(VALU_DEP_1) | instskip(NEXT) | instid1(VALU_DEP_1)
	v_cmp_eq_u32_e64 s0, 0, v1
	s_and_saveexec_b32 s1, s0
	s_delay_alu instid0(SALU_CYCLE_1)
	s_xor_b32 s0, exec_lo, s1
	s_cbranch_execz .LBB1_10
; %bb.9:
	v_mov_b32_e32 v1, 0
	ds_add_f32 v1, v0
.LBB1_10:
	s_or_b32 exec_lo, exec_lo, s0
	s_waitcnt lgkmcnt(0)
	s_barrier
	buffer_gl0_inv
	s_and_saveexec_b32 s0, vcc_lo
	s_cbranch_execz .LBB1_12
; %bb.11:
	v_mov_b32_e32 v0, 0
	ds_load_b32 v1, v0
	s_waitcnt lgkmcnt(0)
	global_store_b32 v0, v1, s[4:5]
.LBB1_12:
	s_nop 0
	s_sendmsg sendmsg(MSG_DEALLOC_VGPRS)
	s_endpgm
	.section	.rodata,"a",@progbits
	.p2align	6, 0x0
	.amdhsa_kernel _Z17reduce_cross_termIfEvPT_PKS0_iii
		.amdhsa_group_segment_fixed_size 4
		.amdhsa_private_segment_fixed_size 0
		.amdhsa_kernarg_size 28
		.amdhsa_user_sgpr_count 15
		.amdhsa_user_sgpr_dispatch_ptr 0
		.amdhsa_user_sgpr_queue_ptr 0
		.amdhsa_user_sgpr_kernarg_segment_ptr 1
		.amdhsa_user_sgpr_dispatch_id 0
		.amdhsa_user_sgpr_private_segment_size 0
		.amdhsa_wavefront_size32 1
		.amdhsa_uses_dynamic_stack 0
		.amdhsa_enable_private_segment 0
		.amdhsa_system_sgpr_workgroup_id_x 1
		.amdhsa_system_sgpr_workgroup_id_y 0
		.amdhsa_system_sgpr_workgroup_id_z 0
		.amdhsa_system_sgpr_workgroup_info 0
		.amdhsa_system_vgpr_workitem_id 0
		.amdhsa_next_free_vgpr 5
		.amdhsa_next_free_sgpr 7
		.amdhsa_reserve_vcc 1
		.amdhsa_float_round_mode_32 0
		.amdhsa_float_round_mode_16_64 0
		.amdhsa_float_denorm_mode_32 3
		.amdhsa_float_denorm_mode_16_64 3
		.amdhsa_dx10_clamp 1
		.amdhsa_ieee_mode 1
		.amdhsa_fp16_overflow 0
		.amdhsa_workgroup_processor_mode 1
		.amdhsa_memory_ordered 1
		.amdhsa_forward_progress 0
		.amdhsa_shared_vgpr_count 0
		.amdhsa_exception_fp_ieee_invalid_op 0
		.amdhsa_exception_fp_denorm_src 0
		.amdhsa_exception_fp_ieee_div_zero 0
		.amdhsa_exception_fp_ieee_overflow 0
		.amdhsa_exception_fp_ieee_underflow 0
		.amdhsa_exception_fp_ieee_inexact 0
		.amdhsa_exception_int_div_zero 0
	.end_amdhsa_kernel
	.section	.text._Z17reduce_cross_termIfEvPT_PKS0_iii,"axG",@progbits,_Z17reduce_cross_termIfEvPT_PKS0_iii,comdat
.Lfunc_end1:
	.size	_Z17reduce_cross_termIfEvPT_PKS0_iii, .Lfunc_end1-_Z17reduce_cross_termIfEvPT_PKS0_iii
                                        ; -- End function
	.section	.AMDGPU.csdata,"",@progbits
; Kernel info:
; codeLenInByte = 376
; NumSgprs: 9
; NumVgprs: 5
; ScratchSize: 0
; MemoryBound: 0
; FloatMode: 240
; IeeeMode: 1
; LDSByteSize: 4 bytes/workgroup (compile time only)
; SGPRBlocks: 1
; VGPRBlocks: 0
; NumSGPRsForWavesPerEU: 9
; NumVGPRsForWavesPerEU: 5
; Occupancy: 16
; WaveLimiterHint : 0
; COMPUTE_PGM_RSRC2:SCRATCH_EN: 0
; COMPUTE_PGM_RSRC2:USER_SGPR: 15
; COMPUTE_PGM_RSRC2:TRAP_HANDLER: 0
; COMPUTE_PGM_RSRC2:TGID_X_EN: 1
; COMPUTE_PGM_RSRC2:TGID_Y_EN: 0
; COMPUTE_PGM_RSRC2:TGID_Z_EN: 0
; COMPUTE_PGM_RSRC2:TIDIG_COMP_CNT: 0
	.section	.text._Z8distanceIdEvPKT_S2_iiS2_S2_PS0_,"axG",@progbits,_Z8distanceIdEvPKT_S2_iiS2_S2_PS0_,comdat
	.protected	_Z8distanceIdEvPKT_S2_iiS2_S2_PS0_ ; -- Begin function _Z8distanceIdEvPKT_S2_iiS2_S2_PS0_
	.globl	_Z8distanceIdEvPKT_S2_iiS2_S2_PS0_
	.p2align	8
	.type	_Z8distanceIdEvPKT_S2_iiS2_S2_PS0_,@function
_Z8distanceIdEvPKT_S2_iiS2_S2_PS0_:     ; @_Z8distanceIdEvPKT_S2_iiS2_S2_PS0_
; %bb.0:
	s_load_b128 s[4:7], s[0:1], 0x0
	v_and_b32_e32 v9, 0x3ff, v0
	v_bfe_u32 v8, v0, 10, 10
	s_delay_alu instid0(VALU_DEP_1) | instskip(NEXT) | instid1(VALU_DEP_1)
	v_or_b32_e32 v0, v9, v8
	v_cmp_eq_u32_e64 s2, 0, v0
	s_delay_alu instid0(VALU_DEP_1)
	s_and_saveexec_b32 s3, s2
	s_cbranch_execz .LBB2_2
; %bb.1:
	v_mov_b32_e32 v0, 0
	s_delay_alu instid0(VALU_DEP_1)
	v_mov_b32_e32 v1, v0
	ds_store_b64 v0, v[0:1] offset:3840
.LBB2_2:
	s_or_b32 exec_lo, exec_lo, s3
	v_lshl_add_u32 v2, s14, 7, v9
	v_lshlrev_b32_e32 v10, 3, v8
	v_lshlrev_b32_e32 v11, 3, v9
	s_delay_alu instid0(VALU_DEP_3) | instskip(NEXT) | instid1(VALU_DEP_1)
	v_ashrrev_i32_e32 v3, 31, v2
	v_lshlrev_b64 v[0:1], 3, v[2:3]
	v_lshl_add_u32 v3, s15, 5, v8
	s_delay_alu instid0(VALU_DEP_1) | instskip(SKIP_1) | instid1(VALU_DEP_3)
	v_ashrrev_i32_e32 v4, 31, v3
	s_waitcnt lgkmcnt(0)
	v_add_co_u32 v6, vcc_lo, s4, v0
	s_delay_alu instid0(VALU_DEP_4)
	v_add_co_ci_u32_e32 v7, vcc_lo, s5, v1, vcc_lo
	s_load_b64 s[4:5], s[0:1], 0x18
	v_lshlrev_b64 v[4:5], 3, v[3:4]
	s_clause 0x3
	global_load_b64 v[12:13], v[6:7], off
	global_load_b64 v[14:15], v[6:7], off offset:256
	global_load_b64 v[16:17], v[6:7], off offset:512
	global_load_b64 v[18:19], v[6:7], off offset:768
	v_cmp_eq_u32_e32 vcc_lo, 0, v9
	s_waitcnt vmcnt(2)
	ds_store_2addr_b64 v11, v[12:13], v[14:15] offset1:32
	s_waitcnt vmcnt(0)
	ds_store_2addr_b64 v11, v[16:17], v[18:19] offset0:64 offset1:96
	v_add_co_u32 v8, s3, s6, v4
	s_delay_alu instid0(VALU_DEP_1)
	v_add_co_ci_u32_e64 v9, s3, s7, v5, s3
	s_and_saveexec_b32 s3, vcc_lo
	s_cbranch_execz .LBB2_4
; %bb.3:
	s_clause 0x3
	global_load_b64 v[12:13], v[8:9], off
	global_load_b64 v[14:15], v[8:9], off offset:64
	global_load_b64 v[16:17], v[8:9], off offset:128
	;; [unrolled: 1-line block ×3, first 2 shown]
	v_add_nc_u32_e32 v20, 0x800, v10
	s_waitcnt vmcnt(2)
	ds_store_2addr_b64 v20, v[12:13], v[14:15] offset0:128 offset1:136
	s_waitcnt vmcnt(0)
	ds_store_2addr_b64 v20, v[16:17], v[18:19] offset0:144 offset1:152
.LBB2_4:
	s_or_b32 exec_lo, exec_lo, s3
	s_load_b64 s[10:11], s[0:1], 0x10
	s_waitcnt lgkmcnt(0)
	s_ashr_i32 s7, s10, 31
	s_mov_b32 s6, s10
	s_delay_alu instid0(SALU_CYCLE_1) | instskip(NEXT) | instid1(SALU_CYCLE_1)
	s_lshl_b64 s[6:7], s[6:7], 3
	v_add_co_u32 v6, s3, v6, s6
	s_delay_alu instid0(VALU_DEP_1)
	v_add_co_ci_u32_e64 v7, s3, s7, v7, s3
	s_clause 0x3
	global_load_b64 v[12:13], v[6:7], off
	global_load_b64 v[14:15], v[6:7], off offset:256
	global_load_b64 v[16:17], v[6:7], off offset:512
	global_load_b64 v[6:7], v[6:7], off offset:768
	s_waitcnt vmcnt(2)
	ds_store_2addr_b64 v11, v[12:13], v[14:15] offset0:128 offset1:160
	s_waitcnt vmcnt(0)
	ds_store_2addr_b64 v11, v[16:17], v[6:7] offset0:192 offset1:224
	s_and_saveexec_b32 s6, vcc_lo
	s_cbranch_execz .LBB2_6
; %bb.5:
	s_ashr_i32 s9, s11, 31
	s_mov_b32 s8, s11
	v_add_nc_u32_e32 v16, 0x800, v10
	s_lshl_b64 s[8:9], s[8:9], 3
	s_delay_alu instid0(SALU_CYCLE_1) | instskip(NEXT) | instid1(VALU_DEP_1)
	v_add_co_u32 v6, s3, v8, s8
	v_add_co_ci_u32_e64 v7, s3, s9, v9, s3
	s_clause 0x3
	global_load_b64 v[8:9], v[6:7], off
	global_load_b64 v[12:13], v[6:7], off offset:64
	global_load_b64 v[14:15], v[6:7], off offset:128
	;; [unrolled: 1-line block ×3, first 2 shown]
	s_waitcnt vmcnt(2)
	ds_store_2addr_b64 v16, v[8:9], v[12:13] offset0:160 offset1:168
	s_waitcnt vmcnt(0)
	ds_store_2addr_b64 v16, v[14:15], v[6:7] offset0:176 offset1:184
.LBB2_6:
	s_or_b32 exec_lo, exec_lo, s6
	v_add_co_u32 v0, s3, s4, v0
	s_delay_alu instid0(VALU_DEP_1)
	v_add_co_ci_u32_e64 v1, s3, s5, v1, s3
	v_add_nc_u32_e32 v14, 0x800, v11
	s_clause 0x3
	global_load_b64 v[6:7], v[0:1], off
	global_load_b64 v[8:9], v[0:1], off offset:256
	global_load_b64 v[12:13], v[0:1], off offset:512
	;; [unrolled: 1-line block ×3, first 2 shown]
	s_waitcnt vmcnt(2)
	ds_store_2addr_b64 v14, v[6:7], v[8:9] offset1:32
	s_waitcnt vmcnt(0)
	ds_store_2addr_b64 v14, v[12:13], v[0:1] offset0:64 offset1:96
	s_and_saveexec_b32 s3, vcc_lo
	s_cbranch_execz .LBB2_8
; %bb.7:
	s_load_b64 s[4:5], s[0:1], 0x20
	v_add_nc_u32_e32 v12, 0x800, v10
	s_waitcnt lgkmcnt(0)
	v_add_co_u32 v0, vcc_lo, s4, v4
	v_add_co_ci_u32_e32 v1, vcc_lo, s5, v5, vcc_lo
	s_clause 0x3
	global_load_b64 v[4:5], v[0:1], off
	global_load_b64 v[6:7], v[0:1], off offset:64
	global_load_b64 v[8:9], v[0:1], off offset:128
	;; [unrolled: 1-line block ×3, first 2 shown]
	s_waitcnt vmcnt(2)
	ds_store_2addr_b64 v12, v[4:5], v[6:7] offset0:192 offset1:200
	s_waitcnt vmcnt(0)
	ds_store_2addr_b64 v12, v[8:9], v[0:1] offset0:208 offset1:216
.LBB2_8:
	s_or_b32 exec_lo, exec_lo, s3
	v_cmp_gt_i32_e64 s7, s10, v2
	v_cmp_gt_i32_e64 s3, s11, v3
	v_mov_b32_e32 v0, 0
	v_dual_mov_b32 v1, 0 :: v_dual_add_nc_u32 v4, 0x800, v11
	s_waitcnt lgkmcnt(0)
	s_delay_alu instid0(VALU_DEP_3)
	s_and_b32 s4, s7, s3
	s_barrier
	buffer_gl0_inv
	s_and_saveexec_b32 s5, s4
	s_cbranch_execz .LBB2_10
; %bb.9:
	v_add_nc_u32_e32 v0, 0x800, v10
	s_mov_b32 s8, 0x652b82fe
	s_mov_b32 s9, 0x3ff71547
	;; [unrolled: 1-line block ×3, first 2 shown]
	ds_load_2addr_stride64_b64 v[5:8], v11 offset1:2
	ds_load_2addr_b64 v[12:15], v0 offset0:128 offset1:160
	s_mov_b32 s13, 0x3e5ade15
	s_waitcnt lgkmcnt(0)
	v_add_f64 v[0:1], v[7:8], -v[14:15]
	v_add_f64 v[5:6], v[5:6], -v[12:13]
	ds_load_b64 v[7:8], v4
	ds_load_b64 v[12:13], v10 offset:3584
	s_waitcnt lgkmcnt(0)
	v_add_f64 v[7:8], v[7:8], v[12:13]
	v_mul_f64 v[0:1], v[0:1], v[0:1]
	s_delay_alu instid0(VALU_DEP_1) | instskip(NEXT) | instid1(VALU_DEP_1)
	v_fma_f64 v[0:1], v[5:6], v[5:6], v[0:1]
	v_div_scale_f64 v[5:6], null, v[7:8], v[7:8], -v[0:1]
	v_div_scale_f64 v[16:17], vcc_lo, -v[0:1], v[7:8], -v[0:1]
	s_delay_alu instid0(VALU_DEP_2) | instskip(SKIP_2) | instid1(VALU_DEP_1)
	v_rcp_f64_e32 v[12:13], v[5:6]
	s_waitcnt_depctr 0xfff
	v_fma_f64 v[14:15], -v[5:6], v[12:13], 1.0
	v_fma_f64 v[12:13], v[12:13], v[14:15], v[12:13]
	s_delay_alu instid0(VALU_DEP_1) | instskip(NEXT) | instid1(VALU_DEP_1)
	v_fma_f64 v[14:15], -v[5:6], v[12:13], 1.0
	v_fma_f64 v[12:13], v[12:13], v[14:15], v[12:13]
	s_delay_alu instid0(VALU_DEP_1) | instskip(NEXT) | instid1(VALU_DEP_1)
	v_mul_f64 v[14:15], v[16:17], v[12:13]
	v_fma_f64 v[5:6], -v[5:6], v[14:15], v[16:17]
	s_delay_alu instid0(VALU_DEP_1) | instskip(NEXT) | instid1(VALU_DEP_1)
	v_div_fmas_f64 v[5:6], v[5:6], v[12:13], v[14:15]
	v_div_fixup_f64 v[0:1], v[5:6], v[7:8], -v[0:1]
	s_delay_alu instid0(VALU_DEP_1) | instskip(SKIP_4) | instid1(VALU_DEP_3)
	v_mul_f64 v[5:6], v[0:1], s[8:9]
	s_mov_b32 s8, 0xfefa39ef
	s_mov_b32 s9, 0xbfe62e42
	v_cmp_nlt_f64_e32 vcc_lo, 0x40900000, v[0:1]
	v_cmp_ngt_f64_e64 s4, 0xc090cc00, v[0:1]
	v_rndne_f64_e32 v[5:6], v[5:6]
	s_delay_alu instid0(VALU_DEP_1) | instskip(SKIP_3) | instid1(VALU_DEP_2)
	v_fma_f64 v[7:8], v[5:6], s[8:9], v[0:1]
	s_mov_b32 s8, 0x3b39803f
	s_mov_b32 s9, 0xbc7abc9e
	v_cvt_i32_f64_e32 v9, v[5:6]
	v_fma_f64 v[7:8], v[5:6], s[8:9], v[7:8]
	s_mov_b32 s8, 0xfca7ab0c
	s_mov_b32 s9, 0x3e928af3
	s_delay_alu instid0(VALU_DEP_1) | instid1(SALU_CYCLE_1)
	v_fma_f64 v[12:13], v[7:8], s[12:13], s[8:9]
	s_mov_b32 s8, 0x623fde64
	s_mov_b32 s9, 0x3ec71dee
	s_delay_alu instid0(VALU_DEP_1) | instid1(SALU_CYCLE_1)
	v_fma_f64 v[12:13], v[7:8], v[12:13], s[8:9]
	s_mov_b32 s8, 0x7c89e6b0
	s_mov_b32 s9, 0x3efa0199
	s_delay_alu instid0(VALU_DEP_1) | instid1(SALU_CYCLE_1)
	v_fma_f64 v[12:13], v[7:8], v[12:13], s[8:9]
	s_mov_b32 s8, 0x14761f6e
	s_mov_b32 s9, 0x3f2a01a0
	s_delay_alu instid0(VALU_DEP_1) | instid1(SALU_CYCLE_1)
	v_fma_f64 v[12:13], v[7:8], v[12:13], s[8:9]
	s_mov_b32 s8, 0x1852b7b0
	s_mov_b32 s9, 0x3f56c16c
	s_delay_alu instid0(VALU_DEP_1) | instid1(SALU_CYCLE_1)
	v_fma_f64 v[12:13], v[7:8], v[12:13], s[8:9]
	s_mov_b32 s8, 0x11122322
	s_mov_b32 s9, 0x3f811111
	s_delay_alu instid0(VALU_DEP_1) | instid1(SALU_CYCLE_1)
	v_fma_f64 v[12:13], v[7:8], v[12:13], s[8:9]
	s_mov_b32 s8, 0x555502a1
	s_mov_b32 s9, 0x3fa55555
	s_delay_alu instid0(VALU_DEP_1) | instid1(SALU_CYCLE_1)
	v_fma_f64 v[12:13], v[7:8], v[12:13], s[8:9]
	s_mov_b32 s8, 0x55555511
	s_mov_b32 s9, 0x3fc55555
	s_delay_alu instid0(VALU_DEP_1) | instid1(SALU_CYCLE_1)
	v_fma_f64 v[12:13], v[7:8], v[12:13], s[8:9]
	s_mov_b32 s8, 11
	s_mov_b32 s9, 0x3fe00000
	s_delay_alu instid0(VALU_DEP_1) | instid1(SALU_CYCLE_1)
	v_fma_f64 v[12:13], v[7:8], v[12:13], s[8:9]
	s_delay_alu instid0(VALU_DEP_1) | instskip(NEXT) | instid1(VALU_DEP_1)
	v_fma_f64 v[12:13], v[7:8], v[12:13], 1.0
	v_fma_f64 v[5:6], v[7:8], v[12:13], 1.0
	s_delay_alu instid0(VALU_DEP_1) | instskip(NEXT) | instid1(VALU_DEP_1)
	v_ldexp_f64 v[5:6], v[5:6], v9
	v_add_f64 v[5:6], v[5:6], 0
	s_delay_alu instid0(VALU_DEP_1) | instskip(SKIP_1) | instid1(VALU_DEP_2)
	v_cndmask_b32_e32 v6, 0x7ff00000, v6, vcc_lo
	s_and_b32 vcc_lo, s4, vcc_lo
	v_cndmask_b32_e32 v0, 0, v5, vcc_lo
	s_delay_alu instid0(VALU_DEP_2)
	v_cndmask_b32_e64 v1, 0, v6, s4
.LBB2_10:
	s_or_b32 exec_lo, exec_lo, s5
	v_add_nc_u32_e32 v5, 8, v3
	s_delay_alu instid0(VALU_DEP_1) | instskip(NEXT) | instid1(VALU_DEP_1)
	v_cmp_gt_i32_e64 s4, s11, v5
	s_and_b32 s5, s7, s4
	s_delay_alu instid0(SALU_CYCLE_1)
	s_and_saveexec_b32 s6, s5
	s_cbranch_execz .LBB2_12
; %bb.11:
	v_add_nc_u32_e32 v9, 0x800, v10
	s_mov_b32 s8, 0x652b82fe
	s_mov_b32 s9, 0x3ff71547
	;; [unrolled: 1-line block ×3, first 2 shown]
	ds_load_2addr_stride64_b64 v[5:8], v11 offset1:2
	ds_load_2addr_b64 v[12:15], v9 offset0:136 offset1:168
	s_mov_b32 s13, 0x3e5ade15
	s_waitcnt lgkmcnt(0)
	v_add_f64 v[7:8], v[7:8], -v[14:15]
	v_add_f64 v[5:6], v[5:6], -v[12:13]
	ds_load_b64 v[12:13], v4
	ds_load_b64 v[14:15], v10 offset:3648
	s_waitcnt lgkmcnt(0)
	v_add_f64 v[12:13], v[12:13], v[14:15]
	v_mul_f64 v[7:8], v[7:8], v[7:8]
	s_delay_alu instid0(VALU_DEP_1) | instskip(NEXT) | instid1(VALU_DEP_1)
	v_fma_f64 v[5:6], v[5:6], v[5:6], v[7:8]
	v_div_scale_f64 v[7:8], null, v[12:13], v[12:13], -v[5:6]
	v_div_scale_f64 v[18:19], vcc_lo, -v[5:6], v[12:13], -v[5:6]
	s_delay_alu instid0(VALU_DEP_2) | instskip(SKIP_2) | instid1(VALU_DEP_1)
	v_rcp_f64_e32 v[14:15], v[7:8]
	s_waitcnt_depctr 0xfff
	v_fma_f64 v[16:17], -v[7:8], v[14:15], 1.0
	v_fma_f64 v[14:15], v[14:15], v[16:17], v[14:15]
	s_delay_alu instid0(VALU_DEP_1) | instskip(NEXT) | instid1(VALU_DEP_1)
	v_fma_f64 v[16:17], -v[7:8], v[14:15], 1.0
	v_fma_f64 v[14:15], v[14:15], v[16:17], v[14:15]
	s_delay_alu instid0(VALU_DEP_1) | instskip(NEXT) | instid1(VALU_DEP_1)
	v_mul_f64 v[16:17], v[18:19], v[14:15]
	v_fma_f64 v[7:8], -v[7:8], v[16:17], v[18:19]
	s_delay_alu instid0(VALU_DEP_1) | instskip(NEXT) | instid1(VALU_DEP_1)
	v_div_fmas_f64 v[7:8], v[7:8], v[14:15], v[16:17]
	v_div_fixup_f64 v[5:6], v[7:8], v[12:13], -v[5:6]
	s_delay_alu instid0(VALU_DEP_1) | instskip(SKIP_4) | instid1(VALU_DEP_3)
	v_mul_f64 v[7:8], v[5:6], s[8:9]
	s_mov_b32 s8, 0xfefa39ef
	s_mov_b32 s9, 0xbfe62e42
	v_cmp_nlt_f64_e32 vcc_lo, 0x40900000, v[5:6]
	v_cmp_ngt_f64_e64 s5, 0xc090cc00, v[5:6]
	v_rndne_f64_e32 v[7:8], v[7:8]
	s_delay_alu instid0(VALU_DEP_1) | instskip(SKIP_3) | instid1(VALU_DEP_2)
	v_fma_f64 v[12:13], v[7:8], s[8:9], v[5:6]
	s_mov_b32 s8, 0x3b39803f
	s_mov_b32 s9, 0xbc7abc9e
	v_cvt_i32_f64_e32 v9, v[7:8]
	v_fma_f64 v[12:13], v[7:8], s[8:9], v[12:13]
	s_mov_b32 s8, 0xfca7ab0c
	s_mov_b32 s9, 0x3e928af3
	s_delay_alu instid0(VALU_DEP_1) | instid1(SALU_CYCLE_1)
	v_fma_f64 v[14:15], v[12:13], s[12:13], s[8:9]
	s_mov_b32 s8, 0x623fde64
	s_mov_b32 s9, 0x3ec71dee
	s_delay_alu instid0(VALU_DEP_1) | instid1(SALU_CYCLE_1)
	;; [unrolled: 4-line block ×9, first 2 shown]
	v_fma_f64 v[14:15], v[12:13], v[14:15], s[8:9]
	s_delay_alu instid0(VALU_DEP_1) | instskip(NEXT) | instid1(VALU_DEP_1)
	v_fma_f64 v[14:15], v[12:13], v[14:15], 1.0
	v_fma_f64 v[7:8], v[12:13], v[14:15], 1.0
	s_delay_alu instid0(VALU_DEP_1) | instskip(NEXT) | instid1(VALU_DEP_1)
	v_ldexp_f64 v[7:8], v[7:8], v9
	v_cndmask_b32_e32 v8, 0x7ff00000, v8, vcc_lo
	s_and_b32 vcc_lo, s5, vcc_lo
	s_delay_alu instid0(VALU_DEP_2) | instskip(NEXT) | instid1(VALU_DEP_2)
	v_cndmask_b32_e32 v5, 0, v7, vcc_lo
	v_cndmask_b32_e64 v6, 0, v8, s5
	s_delay_alu instid0(VALU_DEP_1)
	v_add_f64 v[0:1], v[0:1], v[5:6]
.LBB2_12:
	s_or_b32 exec_lo, exec_lo, s6
	v_add_nc_u32_e32 v5, 16, v3
	s_delay_alu instid0(VALU_DEP_1) | instskip(NEXT) | instid1(VALU_DEP_1)
	v_cmp_gt_i32_e64 s5, s11, v5
	s_and_b32 s6, s7, s5
	s_delay_alu instid0(SALU_CYCLE_1)
	s_and_saveexec_b32 s8, s6
	s_cbranch_execz .LBB2_14
; %bb.13:
	v_add_nc_u32_e32 v9, 0x800, v10
	s_mov_b32 s12, 0x652b82fe
	s_mov_b32 s13, 0x3ff71547
	;; [unrolled: 1-line block ×3, first 2 shown]
	ds_load_2addr_stride64_b64 v[5:8], v11 offset1:2
	ds_load_2addr_b64 v[12:15], v9 offset0:144 offset1:176
	s_mov_b32 s17, 0x3e5ade15
	s_waitcnt lgkmcnt(0)
	v_add_f64 v[7:8], v[7:8], -v[14:15]
	v_add_f64 v[5:6], v[5:6], -v[12:13]
	ds_load_b64 v[12:13], v4
	ds_load_b64 v[14:15], v10 offset:3712
	s_waitcnt lgkmcnt(0)
	v_add_f64 v[12:13], v[12:13], v[14:15]
	v_mul_f64 v[7:8], v[7:8], v[7:8]
	s_delay_alu instid0(VALU_DEP_1) | instskip(NEXT) | instid1(VALU_DEP_1)
	v_fma_f64 v[5:6], v[5:6], v[5:6], v[7:8]
	v_div_scale_f64 v[7:8], null, v[12:13], v[12:13], -v[5:6]
	v_div_scale_f64 v[18:19], vcc_lo, -v[5:6], v[12:13], -v[5:6]
	s_delay_alu instid0(VALU_DEP_2) | instskip(SKIP_2) | instid1(VALU_DEP_1)
	v_rcp_f64_e32 v[14:15], v[7:8]
	s_waitcnt_depctr 0xfff
	v_fma_f64 v[16:17], -v[7:8], v[14:15], 1.0
	v_fma_f64 v[14:15], v[14:15], v[16:17], v[14:15]
	s_delay_alu instid0(VALU_DEP_1) | instskip(NEXT) | instid1(VALU_DEP_1)
	v_fma_f64 v[16:17], -v[7:8], v[14:15], 1.0
	v_fma_f64 v[14:15], v[14:15], v[16:17], v[14:15]
	s_delay_alu instid0(VALU_DEP_1) | instskip(NEXT) | instid1(VALU_DEP_1)
	v_mul_f64 v[16:17], v[18:19], v[14:15]
	v_fma_f64 v[7:8], -v[7:8], v[16:17], v[18:19]
	s_delay_alu instid0(VALU_DEP_1) | instskip(NEXT) | instid1(VALU_DEP_1)
	v_div_fmas_f64 v[7:8], v[7:8], v[14:15], v[16:17]
	v_div_fixup_f64 v[5:6], v[7:8], v[12:13], -v[5:6]
	s_delay_alu instid0(VALU_DEP_1) | instskip(SKIP_4) | instid1(VALU_DEP_3)
	v_mul_f64 v[7:8], v[5:6], s[12:13]
	s_mov_b32 s12, 0xfefa39ef
	s_mov_b32 s13, 0xbfe62e42
	v_cmp_nlt_f64_e32 vcc_lo, 0x40900000, v[5:6]
	v_cmp_ngt_f64_e64 s6, 0xc090cc00, v[5:6]
	v_rndne_f64_e32 v[7:8], v[7:8]
	s_delay_alu instid0(VALU_DEP_1) | instskip(SKIP_3) | instid1(VALU_DEP_2)
	v_fma_f64 v[12:13], v[7:8], s[12:13], v[5:6]
	s_mov_b32 s12, 0x3b39803f
	s_mov_b32 s13, 0xbc7abc9e
	v_cvt_i32_f64_e32 v9, v[7:8]
	v_fma_f64 v[12:13], v[7:8], s[12:13], v[12:13]
	s_mov_b32 s12, 0xfca7ab0c
	s_mov_b32 s13, 0x3e928af3
	s_delay_alu instid0(VALU_DEP_1) | instid1(SALU_CYCLE_1)
	v_fma_f64 v[14:15], v[12:13], s[16:17], s[12:13]
	s_mov_b32 s12, 0x623fde64
	s_mov_b32 s13, 0x3ec71dee
	s_delay_alu instid0(VALU_DEP_1) | instid1(SALU_CYCLE_1)
	;; [unrolled: 4-line block ×9, first 2 shown]
	v_fma_f64 v[14:15], v[12:13], v[14:15], s[12:13]
	s_delay_alu instid0(VALU_DEP_1) | instskip(NEXT) | instid1(VALU_DEP_1)
	v_fma_f64 v[14:15], v[12:13], v[14:15], 1.0
	v_fma_f64 v[7:8], v[12:13], v[14:15], 1.0
	s_delay_alu instid0(VALU_DEP_1) | instskip(NEXT) | instid1(VALU_DEP_1)
	v_ldexp_f64 v[7:8], v[7:8], v9
	v_cndmask_b32_e32 v8, 0x7ff00000, v8, vcc_lo
	s_and_b32 vcc_lo, s6, vcc_lo
	s_delay_alu instid0(VALU_DEP_2) | instskip(NEXT) | instid1(VALU_DEP_2)
	v_cndmask_b32_e32 v5, 0, v7, vcc_lo
	v_cndmask_b32_e64 v6, 0, v8, s6
	s_delay_alu instid0(VALU_DEP_1)
	v_add_f64 v[0:1], v[0:1], v[5:6]
.LBB2_14:
	s_or_b32 exec_lo, exec_lo, s8
	v_add_nc_u32_e32 v3, 24, v3
	s_delay_alu instid0(VALU_DEP_1) | instskip(NEXT) | instid1(VALU_DEP_1)
	v_cmp_gt_i32_e64 s6, s11, v3
	s_and_b32 s7, s7, s6
	s_delay_alu instid0(SALU_CYCLE_1)
	s_and_saveexec_b32 s8, s7
	s_cbranch_execz .LBB2_16
; %bb.15:
	v_add_nc_u32_e32 v3, 0x800, v10
	s_mov_b32 s12, 0x652b82fe
	s_mov_b32 s13, 0x3ff71547
	;; [unrolled: 1-line block ×3, first 2 shown]
	ds_load_2addr_stride64_b64 v[5:8], v11 offset1:2
	ds_load_2addr_b64 v[12:15], v3 offset0:152 offset1:184
	s_mov_b32 s17, 0x3e5ade15
	s_waitcnt lgkmcnt(0)
	v_add_f64 v[7:8], v[7:8], -v[14:15]
	v_add_f64 v[5:6], v[5:6], -v[12:13]
	ds_load_b64 v[12:13], v4
	ds_load_b64 v[14:15], v10 offset:3776
	s_waitcnt lgkmcnt(0)
	v_add_f64 v[12:13], v[12:13], v[14:15]
	v_mul_f64 v[7:8], v[7:8], v[7:8]
	s_delay_alu instid0(VALU_DEP_1) | instskip(NEXT) | instid1(VALU_DEP_1)
	v_fma_f64 v[5:6], v[5:6], v[5:6], v[7:8]
	v_div_scale_f64 v[7:8], null, v[12:13], v[12:13], -v[5:6]
	v_div_scale_f64 v[18:19], vcc_lo, -v[5:6], v[12:13], -v[5:6]
	s_delay_alu instid0(VALU_DEP_2) | instskip(SKIP_2) | instid1(VALU_DEP_1)
	v_rcp_f64_e32 v[14:15], v[7:8]
	s_waitcnt_depctr 0xfff
	v_fma_f64 v[16:17], -v[7:8], v[14:15], 1.0
	v_fma_f64 v[14:15], v[14:15], v[16:17], v[14:15]
	s_delay_alu instid0(VALU_DEP_1) | instskip(NEXT) | instid1(VALU_DEP_1)
	v_fma_f64 v[16:17], -v[7:8], v[14:15], 1.0
	v_fma_f64 v[14:15], v[14:15], v[16:17], v[14:15]
	s_delay_alu instid0(VALU_DEP_1) | instskip(NEXT) | instid1(VALU_DEP_1)
	v_mul_f64 v[16:17], v[18:19], v[14:15]
	v_fma_f64 v[7:8], -v[7:8], v[16:17], v[18:19]
	s_delay_alu instid0(VALU_DEP_1) | instskip(NEXT) | instid1(VALU_DEP_1)
	v_div_fmas_f64 v[7:8], v[7:8], v[14:15], v[16:17]
	v_div_fixup_f64 v[5:6], v[7:8], v[12:13], -v[5:6]
	s_delay_alu instid0(VALU_DEP_1) | instskip(SKIP_4) | instid1(VALU_DEP_3)
	v_mul_f64 v[7:8], v[5:6], s[12:13]
	s_mov_b32 s12, 0xfefa39ef
	s_mov_b32 s13, 0xbfe62e42
	v_cmp_nlt_f64_e32 vcc_lo, 0x40900000, v[5:6]
	v_cmp_ngt_f64_e64 s7, 0xc090cc00, v[5:6]
	v_rndne_f64_e32 v[7:8], v[7:8]
	s_delay_alu instid0(VALU_DEP_1) | instskip(SKIP_3) | instid1(VALU_DEP_2)
	v_fma_f64 v[12:13], v[7:8], s[12:13], v[5:6]
	s_mov_b32 s12, 0x3b39803f
	s_mov_b32 s13, 0xbc7abc9e
	v_cvt_i32_f64_e32 v3, v[7:8]
	v_fma_f64 v[12:13], v[7:8], s[12:13], v[12:13]
	s_mov_b32 s12, 0xfca7ab0c
	s_mov_b32 s13, 0x3e928af3
	s_delay_alu instid0(VALU_DEP_1) | instid1(SALU_CYCLE_1)
	v_fma_f64 v[14:15], v[12:13], s[16:17], s[12:13]
	s_mov_b32 s12, 0x623fde64
	s_mov_b32 s13, 0x3ec71dee
	s_delay_alu instid0(VALU_DEP_1) | instid1(SALU_CYCLE_1)
	;; [unrolled: 4-line block ×9, first 2 shown]
	v_fma_f64 v[14:15], v[12:13], v[14:15], s[12:13]
	s_delay_alu instid0(VALU_DEP_1) | instskip(NEXT) | instid1(VALU_DEP_1)
	v_fma_f64 v[14:15], v[12:13], v[14:15], 1.0
	v_fma_f64 v[7:8], v[12:13], v[14:15], 1.0
	s_delay_alu instid0(VALU_DEP_1) | instskip(NEXT) | instid1(VALU_DEP_1)
	v_ldexp_f64 v[7:8], v[7:8], v3
	v_cndmask_b32_e32 v3, 0x7ff00000, v8, vcc_lo
	s_and_b32 vcc_lo, s7, vcc_lo
	s_delay_alu instid0(VALU_DEP_2) | instskip(NEXT) | instid1(VALU_DEP_2)
	v_cndmask_b32_e32 v5, 0, v7, vcc_lo
	v_cndmask_b32_e64 v6, 0, v3, s7
	s_delay_alu instid0(VALU_DEP_1)
	v_add_f64 v[0:1], v[0:1], v[5:6]
.LBB2_16:
	s_or_b32 exec_lo, exec_lo, s8
	v_add_nc_u32_e32 v3, 32, v2
	s_delay_alu instid0(VALU_DEP_1) | instskip(NEXT) | instid1(VALU_DEP_1)
	v_cmp_gt_i32_e64 s7, s10, v3
	s_and_b32 s8, s7, s3
	s_delay_alu instid0(SALU_CYCLE_1)
	s_and_saveexec_b32 s9, s8
	s_cbranch_execnz .LBB2_41
; %bb.17:
	s_or_b32 exec_lo, exec_lo, s9
	s_and_b32 s8, s7, s4
	s_delay_alu instid0(SALU_CYCLE_1)
	s_and_saveexec_b32 s9, s8
	s_cbranch_execnz .LBB2_42
.LBB2_18:
	s_or_b32 exec_lo, exec_lo, s9
	s_and_b32 s8, s7, s5
	s_delay_alu instid0(SALU_CYCLE_1)
	s_and_saveexec_b32 s9, s8
	s_cbranch_execnz .LBB2_43
.LBB2_19:
	s_or_b32 exec_lo, exec_lo, s9
	s_and_b32 s7, s7, s6
	s_delay_alu instid0(SALU_CYCLE_1)
	s_and_saveexec_b32 s8, s7
	s_cbranch_execz .LBB2_21
.LBB2_20:
	v_add_nc_u32_e32 v3, 0x800, v10
	s_mov_b32 s12, 0x652b82fe
	s_mov_b32 s13, 0x3ff71547
	;; [unrolled: 1-line block ×3, first 2 shown]
	ds_load_2addr_b64 v[5:8], v11 offset0:32 offset1:160
	ds_load_2addr_b64 v[12:15], v3 offset0:152 offset1:184
	s_mov_b32 s17, 0x3e5ade15
	s_waitcnt lgkmcnt(0)
	v_add_f64 v[7:8], v[7:8], -v[14:15]
	v_add_f64 v[5:6], v[5:6], -v[12:13]
	ds_load_b64 v[12:13], v4 offset:256
	ds_load_b64 v[14:15], v10 offset:3776
	s_waitcnt lgkmcnt(0)
	v_add_f64 v[12:13], v[12:13], v[14:15]
	v_mul_f64 v[7:8], v[7:8], v[7:8]
	s_delay_alu instid0(VALU_DEP_1) | instskip(NEXT) | instid1(VALU_DEP_1)
	v_fma_f64 v[5:6], v[5:6], v[5:6], v[7:8]
	v_div_scale_f64 v[7:8], null, v[12:13], v[12:13], -v[5:6]
	v_div_scale_f64 v[18:19], vcc_lo, -v[5:6], v[12:13], -v[5:6]
	s_delay_alu instid0(VALU_DEP_2) | instskip(SKIP_2) | instid1(VALU_DEP_1)
	v_rcp_f64_e32 v[14:15], v[7:8]
	s_waitcnt_depctr 0xfff
	v_fma_f64 v[16:17], -v[7:8], v[14:15], 1.0
	v_fma_f64 v[14:15], v[14:15], v[16:17], v[14:15]
	s_delay_alu instid0(VALU_DEP_1) | instskip(NEXT) | instid1(VALU_DEP_1)
	v_fma_f64 v[16:17], -v[7:8], v[14:15], 1.0
	v_fma_f64 v[14:15], v[14:15], v[16:17], v[14:15]
	s_delay_alu instid0(VALU_DEP_1) | instskip(NEXT) | instid1(VALU_DEP_1)
	v_mul_f64 v[16:17], v[18:19], v[14:15]
	v_fma_f64 v[7:8], -v[7:8], v[16:17], v[18:19]
	s_delay_alu instid0(VALU_DEP_1) | instskip(NEXT) | instid1(VALU_DEP_1)
	v_div_fmas_f64 v[7:8], v[7:8], v[14:15], v[16:17]
	v_div_fixup_f64 v[5:6], v[7:8], v[12:13], -v[5:6]
	s_delay_alu instid0(VALU_DEP_1) | instskip(SKIP_4) | instid1(VALU_DEP_3)
	v_mul_f64 v[7:8], v[5:6], s[12:13]
	s_mov_b32 s12, 0xfefa39ef
	s_mov_b32 s13, 0xbfe62e42
	v_cmp_nlt_f64_e32 vcc_lo, 0x40900000, v[5:6]
	v_cmp_ngt_f64_e64 s7, 0xc090cc00, v[5:6]
	v_rndne_f64_e32 v[7:8], v[7:8]
	s_delay_alu instid0(VALU_DEP_1) | instskip(SKIP_3) | instid1(VALU_DEP_2)
	v_fma_f64 v[12:13], v[7:8], s[12:13], v[5:6]
	s_mov_b32 s12, 0x3b39803f
	s_mov_b32 s13, 0xbc7abc9e
	v_cvt_i32_f64_e32 v3, v[7:8]
	v_fma_f64 v[12:13], v[7:8], s[12:13], v[12:13]
	s_mov_b32 s12, 0xfca7ab0c
	s_mov_b32 s13, 0x3e928af3
	s_delay_alu instid0(VALU_DEP_1) | instid1(SALU_CYCLE_1)
	v_fma_f64 v[14:15], v[12:13], s[16:17], s[12:13]
	s_mov_b32 s12, 0x623fde64
	s_mov_b32 s13, 0x3ec71dee
	s_delay_alu instid0(VALU_DEP_1) | instid1(SALU_CYCLE_1)
	;; [unrolled: 4-line block ×9, first 2 shown]
	v_fma_f64 v[14:15], v[12:13], v[14:15], s[12:13]
	s_delay_alu instid0(VALU_DEP_1) | instskip(NEXT) | instid1(VALU_DEP_1)
	v_fma_f64 v[14:15], v[12:13], v[14:15], 1.0
	v_fma_f64 v[7:8], v[12:13], v[14:15], 1.0
	s_delay_alu instid0(VALU_DEP_1) | instskip(NEXT) | instid1(VALU_DEP_1)
	v_ldexp_f64 v[7:8], v[7:8], v3
	v_cndmask_b32_e32 v3, 0x7ff00000, v8, vcc_lo
	s_and_b32 vcc_lo, s7, vcc_lo
	s_delay_alu instid0(VALU_DEP_2) | instskip(NEXT) | instid1(VALU_DEP_2)
	v_cndmask_b32_e32 v5, 0, v7, vcc_lo
	v_cndmask_b32_e64 v6, 0, v3, s7
	s_delay_alu instid0(VALU_DEP_1)
	v_add_f64 v[0:1], v[0:1], v[5:6]
.LBB2_21:
	s_or_b32 exec_lo, exec_lo, s8
	v_add_nc_u32_e32 v3, 64, v2
	s_delay_alu instid0(VALU_DEP_1) | instskip(NEXT) | instid1(VALU_DEP_1)
	v_cmp_gt_i32_e64 s7, s10, v3
	s_and_b32 s8, s7, s3
	s_delay_alu instid0(SALU_CYCLE_1)
	s_and_saveexec_b32 s9, s8
	s_cbranch_execnz .LBB2_44
; %bb.22:
	s_or_b32 exec_lo, exec_lo, s9
	s_and_b32 s8, s7, s4
	s_delay_alu instid0(SALU_CYCLE_1)
	s_and_saveexec_b32 s9, s8
	s_cbranch_execnz .LBB2_45
.LBB2_23:
	s_or_b32 exec_lo, exec_lo, s9
	s_and_b32 s8, s7, s5
	s_delay_alu instid0(SALU_CYCLE_1)
	s_and_saveexec_b32 s9, s8
	s_cbranch_execnz .LBB2_46
.LBB2_24:
	s_or_b32 exec_lo, exec_lo, s9
	s_and_b32 s7, s7, s6
	s_delay_alu instid0(SALU_CYCLE_1)
	s_and_saveexec_b32 s8, s7
	s_cbranch_execz .LBB2_26
.LBB2_25:
	v_add_nc_u32_e32 v3, 0x800, v10
	s_mov_b32 s12, 0x652b82fe
	s_mov_b32 s13, 0x3ff71547
	;; [unrolled: 1-line block ×3, first 2 shown]
	ds_load_2addr_stride64_b64 v[5:8], v11 offset0:1 offset1:3
	ds_load_2addr_b64 v[12:15], v3 offset0:152 offset1:184
	s_mov_b32 s17, 0x3e5ade15
	s_waitcnt lgkmcnt(0)
	v_add_f64 v[7:8], v[7:8], -v[14:15]
	v_add_f64 v[5:6], v[5:6], -v[12:13]
	ds_load_b64 v[12:13], v4 offset:512
	ds_load_b64 v[14:15], v10 offset:3776
	s_waitcnt lgkmcnt(0)
	v_add_f64 v[12:13], v[12:13], v[14:15]
	v_mul_f64 v[7:8], v[7:8], v[7:8]
	s_delay_alu instid0(VALU_DEP_1) | instskip(NEXT) | instid1(VALU_DEP_1)
	v_fma_f64 v[5:6], v[5:6], v[5:6], v[7:8]
	v_div_scale_f64 v[7:8], null, v[12:13], v[12:13], -v[5:6]
	v_div_scale_f64 v[18:19], vcc_lo, -v[5:6], v[12:13], -v[5:6]
	s_delay_alu instid0(VALU_DEP_2) | instskip(SKIP_2) | instid1(VALU_DEP_1)
	v_rcp_f64_e32 v[14:15], v[7:8]
	s_waitcnt_depctr 0xfff
	v_fma_f64 v[16:17], -v[7:8], v[14:15], 1.0
	v_fma_f64 v[14:15], v[14:15], v[16:17], v[14:15]
	s_delay_alu instid0(VALU_DEP_1) | instskip(NEXT) | instid1(VALU_DEP_1)
	v_fma_f64 v[16:17], -v[7:8], v[14:15], 1.0
	v_fma_f64 v[14:15], v[14:15], v[16:17], v[14:15]
	s_delay_alu instid0(VALU_DEP_1) | instskip(NEXT) | instid1(VALU_DEP_1)
	v_mul_f64 v[16:17], v[18:19], v[14:15]
	v_fma_f64 v[7:8], -v[7:8], v[16:17], v[18:19]
	s_delay_alu instid0(VALU_DEP_1) | instskip(NEXT) | instid1(VALU_DEP_1)
	v_div_fmas_f64 v[7:8], v[7:8], v[14:15], v[16:17]
	v_div_fixup_f64 v[5:6], v[7:8], v[12:13], -v[5:6]
	s_delay_alu instid0(VALU_DEP_1) | instskip(SKIP_4) | instid1(VALU_DEP_3)
	v_mul_f64 v[7:8], v[5:6], s[12:13]
	s_mov_b32 s12, 0xfefa39ef
	s_mov_b32 s13, 0xbfe62e42
	v_cmp_nlt_f64_e32 vcc_lo, 0x40900000, v[5:6]
	v_cmp_ngt_f64_e64 s7, 0xc090cc00, v[5:6]
	v_rndne_f64_e32 v[7:8], v[7:8]
	s_delay_alu instid0(VALU_DEP_1) | instskip(SKIP_3) | instid1(VALU_DEP_2)
	v_fma_f64 v[12:13], v[7:8], s[12:13], v[5:6]
	s_mov_b32 s12, 0x3b39803f
	s_mov_b32 s13, 0xbc7abc9e
	v_cvt_i32_f64_e32 v3, v[7:8]
	v_fma_f64 v[12:13], v[7:8], s[12:13], v[12:13]
	s_mov_b32 s12, 0xfca7ab0c
	s_mov_b32 s13, 0x3e928af3
	s_delay_alu instid0(VALU_DEP_1) | instid1(SALU_CYCLE_1)
	v_fma_f64 v[14:15], v[12:13], s[16:17], s[12:13]
	s_mov_b32 s12, 0x623fde64
	s_mov_b32 s13, 0x3ec71dee
	s_delay_alu instid0(VALU_DEP_1) | instid1(SALU_CYCLE_1)
	;; [unrolled: 4-line block ×9, first 2 shown]
	v_fma_f64 v[14:15], v[12:13], v[14:15], s[12:13]
	s_delay_alu instid0(VALU_DEP_1) | instskip(NEXT) | instid1(VALU_DEP_1)
	v_fma_f64 v[14:15], v[12:13], v[14:15], 1.0
	v_fma_f64 v[7:8], v[12:13], v[14:15], 1.0
	s_delay_alu instid0(VALU_DEP_1) | instskip(NEXT) | instid1(VALU_DEP_1)
	v_ldexp_f64 v[7:8], v[7:8], v3
	v_cndmask_b32_e32 v3, 0x7ff00000, v8, vcc_lo
	s_and_b32 vcc_lo, s7, vcc_lo
	s_delay_alu instid0(VALU_DEP_2) | instskip(NEXT) | instid1(VALU_DEP_2)
	v_cndmask_b32_e32 v5, 0, v7, vcc_lo
	v_cndmask_b32_e64 v6, 0, v3, s7
	s_delay_alu instid0(VALU_DEP_1)
	v_add_f64 v[0:1], v[0:1], v[5:6]
.LBB2_26:
	s_or_b32 exec_lo, exec_lo, s8
	v_add_nc_u32_e32 v2, 0x60, v2
	s_delay_alu instid0(VALU_DEP_1) | instskip(NEXT) | instid1(VALU_DEP_1)
	v_cmp_gt_i32_e64 s7, s10, v2
	s_and_b32 s3, s7, s3
	s_delay_alu instid0(SALU_CYCLE_1)
	s_and_saveexec_b32 s8, s3
	s_cbranch_execnz .LBB2_47
; %bb.27:
	s_or_b32 exec_lo, exec_lo, s8
	s_and_b32 s3, s7, s4
	s_delay_alu instid0(SALU_CYCLE_1)
	s_and_saveexec_b32 s4, s3
	s_cbranch_execnz .LBB2_48
.LBB2_28:
	s_or_b32 exec_lo, exec_lo, s4
	s_and_b32 s3, s7, s5
	s_delay_alu instid0(SALU_CYCLE_1)
	s_and_saveexec_b32 s4, s3
	s_cbranch_execz .LBB2_30
.LBB2_29:
	v_add_nc_u32_e32 v2, 0x800, v10
	s_mov_b32 s8, 0x652b82fe
	s_mov_b32 s9, 0x3ff71547
	;; [unrolled: 1-line block ×3, first 2 shown]
	ds_load_2addr_b64 v[5:8], v11 offset0:96 offset1:224
	ds_load_2addr_b64 v[12:15], v2 offset0:144 offset1:176
	s_mov_b32 s11, 0x3e5ade15
	s_waitcnt lgkmcnt(0)
	v_add_f64 v[2:3], v[7:8], -v[14:15]
	v_add_f64 v[5:6], v[5:6], -v[12:13]
	ds_load_b64 v[7:8], v4 offset:768
	ds_load_b64 v[12:13], v10 offset:3712
	s_waitcnt lgkmcnt(0)
	v_add_f64 v[7:8], v[7:8], v[12:13]
	v_mul_f64 v[2:3], v[2:3], v[2:3]
	s_delay_alu instid0(VALU_DEP_1) | instskip(NEXT) | instid1(VALU_DEP_1)
	v_fma_f64 v[2:3], v[5:6], v[5:6], v[2:3]
	v_div_scale_f64 v[5:6], null, v[7:8], v[7:8], -v[2:3]
	v_div_scale_f64 v[16:17], vcc_lo, -v[2:3], v[7:8], -v[2:3]
	s_delay_alu instid0(VALU_DEP_2) | instskip(SKIP_2) | instid1(VALU_DEP_1)
	v_rcp_f64_e32 v[12:13], v[5:6]
	s_waitcnt_depctr 0xfff
	v_fma_f64 v[14:15], -v[5:6], v[12:13], 1.0
	v_fma_f64 v[12:13], v[12:13], v[14:15], v[12:13]
	s_delay_alu instid0(VALU_DEP_1) | instskip(NEXT) | instid1(VALU_DEP_1)
	v_fma_f64 v[14:15], -v[5:6], v[12:13], 1.0
	v_fma_f64 v[12:13], v[12:13], v[14:15], v[12:13]
	s_delay_alu instid0(VALU_DEP_1) | instskip(NEXT) | instid1(VALU_DEP_1)
	v_mul_f64 v[14:15], v[16:17], v[12:13]
	v_fma_f64 v[5:6], -v[5:6], v[14:15], v[16:17]
	s_delay_alu instid0(VALU_DEP_1) | instskip(NEXT) | instid1(VALU_DEP_1)
	v_div_fmas_f64 v[5:6], v[5:6], v[12:13], v[14:15]
	v_div_fixup_f64 v[2:3], v[5:6], v[7:8], -v[2:3]
	s_delay_alu instid0(VALU_DEP_1) | instskip(SKIP_4) | instid1(VALU_DEP_3)
	v_mul_f64 v[5:6], v[2:3], s[8:9]
	s_mov_b32 s8, 0xfefa39ef
	s_mov_b32 s9, 0xbfe62e42
	v_cmp_nlt_f64_e32 vcc_lo, 0x40900000, v[2:3]
	v_cmp_ngt_f64_e64 s3, 0xc090cc00, v[2:3]
	v_rndne_f64_e32 v[5:6], v[5:6]
	s_delay_alu instid0(VALU_DEP_1) | instskip(SKIP_3) | instid1(VALU_DEP_2)
	v_fma_f64 v[7:8], v[5:6], s[8:9], v[2:3]
	s_mov_b32 s8, 0x3b39803f
	s_mov_b32 s9, 0xbc7abc9e
	v_cvt_i32_f64_e32 v9, v[5:6]
	v_fma_f64 v[7:8], v[5:6], s[8:9], v[7:8]
	s_mov_b32 s8, 0xfca7ab0c
	s_mov_b32 s9, 0x3e928af3
	s_delay_alu instid0(VALU_DEP_1) | instid1(SALU_CYCLE_1)
	v_fma_f64 v[12:13], v[7:8], s[10:11], s[8:9]
	s_mov_b32 s8, 0x623fde64
	s_mov_b32 s9, 0x3ec71dee
	s_delay_alu instid0(VALU_DEP_1) | instid1(SALU_CYCLE_1)
	;; [unrolled: 4-line block ×9, first 2 shown]
	v_fma_f64 v[12:13], v[7:8], v[12:13], s[8:9]
	s_delay_alu instid0(VALU_DEP_1) | instskip(NEXT) | instid1(VALU_DEP_1)
	v_fma_f64 v[12:13], v[7:8], v[12:13], 1.0
	v_fma_f64 v[5:6], v[7:8], v[12:13], 1.0
	s_delay_alu instid0(VALU_DEP_1) | instskip(NEXT) | instid1(VALU_DEP_1)
	v_ldexp_f64 v[5:6], v[5:6], v9
	v_cndmask_b32_e32 v6, 0x7ff00000, v6, vcc_lo
	s_and_b32 vcc_lo, s3, vcc_lo
	s_delay_alu instid0(VALU_DEP_2) | instskip(NEXT) | instid1(VALU_DEP_2)
	v_cndmask_b32_e32 v2, 0, v5, vcc_lo
	v_cndmask_b32_e64 v3, 0, v6, s3
	s_delay_alu instid0(VALU_DEP_1)
	v_add_f64 v[0:1], v[0:1], v[2:3]
.LBB2_30:
	s_or_b32 exec_lo, exec_lo, s4
	s_load_b64 s[4:5], s[0:1], 0x28
	s_and_b32 s3, s7, s6
	s_delay_alu instid0(SALU_CYCLE_1)
	s_and_saveexec_b32 s6, s3
	s_cbranch_execz .LBB2_32
; %bb.31:
	v_add_nc_u32_e32 v2, 0x800, v10
	s_mov_b32 s8, 0x652b82fe
	s_mov_b32 s9, 0x3ff71547
	;; [unrolled: 1-line block ×3, first 2 shown]
	ds_load_2addr_b64 v[5:8], v11 offset0:96 offset1:224
	ds_load_2addr_b64 v[11:14], v2 offset0:152 offset1:184
	s_mov_b32 s11, 0x3e5ade15
	s_waitcnt lgkmcnt(0)
	v_add_f64 v[2:3], v[7:8], -v[13:14]
	v_add_f64 v[5:6], v[5:6], -v[11:12]
	ds_load_b64 v[7:8], v4 offset:768
	ds_load_b64 v[9:10], v10 offset:3776
	s_waitcnt lgkmcnt(0)
	v_add_f64 v[7:8], v[7:8], v[9:10]
	v_mul_f64 v[2:3], v[2:3], v[2:3]
	s_delay_alu instid0(VALU_DEP_1) | instskip(NEXT) | instid1(VALU_DEP_1)
	v_fma_f64 v[2:3], v[5:6], v[5:6], v[2:3]
	v_div_scale_f64 v[4:5], null, v[7:8], v[7:8], -v[2:3]
	v_div_scale_f64 v[13:14], vcc_lo, -v[2:3], v[7:8], -v[2:3]
	s_delay_alu instid0(VALU_DEP_2) | instskip(SKIP_2) | instid1(VALU_DEP_1)
	v_rcp_f64_e32 v[9:10], v[4:5]
	s_waitcnt_depctr 0xfff
	v_fma_f64 v[11:12], -v[4:5], v[9:10], 1.0
	v_fma_f64 v[9:10], v[9:10], v[11:12], v[9:10]
	s_delay_alu instid0(VALU_DEP_1) | instskip(NEXT) | instid1(VALU_DEP_1)
	v_fma_f64 v[11:12], -v[4:5], v[9:10], 1.0
	v_fma_f64 v[9:10], v[9:10], v[11:12], v[9:10]
	s_delay_alu instid0(VALU_DEP_1) | instskip(NEXT) | instid1(VALU_DEP_1)
	v_mul_f64 v[11:12], v[13:14], v[9:10]
	v_fma_f64 v[4:5], -v[4:5], v[11:12], v[13:14]
	s_delay_alu instid0(VALU_DEP_1) | instskip(NEXT) | instid1(VALU_DEP_1)
	v_div_fmas_f64 v[4:5], v[4:5], v[9:10], v[11:12]
	v_div_fixup_f64 v[2:3], v[4:5], v[7:8], -v[2:3]
	s_delay_alu instid0(VALU_DEP_1) | instskip(SKIP_4) | instid1(VALU_DEP_3)
	v_mul_f64 v[4:5], v[2:3], s[8:9]
	s_mov_b32 s8, 0xfefa39ef
	s_mov_b32 s9, 0xbfe62e42
	v_cmp_nlt_f64_e32 vcc_lo, 0x40900000, v[2:3]
	v_cmp_ngt_f64_e64 s3, 0xc090cc00, v[2:3]
	v_rndne_f64_e32 v[4:5], v[4:5]
	s_delay_alu instid0(VALU_DEP_1) | instskip(SKIP_3) | instid1(VALU_DEP_2)
	v_fma_f64 v[6:7], v[4:5], s[8:9], v[2:3]
	s_mov_b32 s8, 0x3b39803f
	s_mov_b32 s9, 0xbc7abc9e
	v_cvt_i32_f64_e32 v10, v[4:5]
	v_fma_f64 v[6:7], v[4:5], s[8:9], v[6:7]
	s_mov_b32 s8, 0xfca7ab0c
	s_mov_b32 s9, 0x3e928af3
	s_delay_alu instid0(VALU_DEP_1) | instid1(SALU_CYCLE_1)
	v_fma_f64 v[8:9], v[6:7], s[10:11], s[8:9]
	s_mov_b32 s8, 0x623fde64
	s_mov_b32 s9, 0x3ec71dee
	s_delay_alu instid0(VALU_DEP_1) | instid1(SALU_CYCLE_1)
	;; [unrolled: 4-line block ×9, first 2 shown]
	v_fma_f64 v[8:9], v[6:7], v[8:9], s[8:9]
	s_delay_alu instid0(VALU_DEP_1) | instskip(NEXT) | instid1(VALU_DEP_1)
	v_fma_f64 v[8:9], v[6:7], v[8:9], 1.0
	v_fma_f64 v[4:5], v[6:7], v[8:9], 1.0
	s_delay_alu instid0(VALU_DEP_1) | instskip(NEXT) | instid1(VALU_DEP_1)
	v_ldexp_f64 v[4:5], v[4:5], v10
	v_cndmask_b32_e32 v5, 0x7ff00000, v5, vcc_lo
	s_and_b32 vcc_lo, s3, vcc_lo
	s_delay_alu instid0(VALU_DEP_2) | instskip(NEXT) | instid1(VALU_DEP_2)
	v_cndmask_b32_e32 v2, 0, v4, vcc_lo
	v_cndmask_b32_e64 v3, 0, v5, s3
	s_delay_alu instid0(VALU_DEP_1)
	v_add_f64 v[0:1], v[0:1], v[2:3]
.LBB2_32:
	s_or_b32 exec_lo, exec_lo, s6
	v_mov_b32_e32 v2, 0
	v_bfrev_b32_e32 v3, 1
	s_mov_b32 s3, exec_lo
.LBB2_33:                               ; =>This Inner Loop Header: Depth=1
	s_delay_alu instid0(SALU_CYCLE_1)
	s_ctz_i32_b32 s8, s3
	s_delay_alu instid0(VALU_DEP_3) | instid1(SALU_CYCLE_1)
	v_readlane_b32 s7, v1, s8
	s_delay_alu instid0(VALU_DEP_4) | instskip(NEXT) | instid1(VALU_DEP_1)
	v_readlane_b32 s6, v0, s8
	v_add_f64 v[2:3], v[2:3], s[6:7]
	s_lshl_b32 s6, 1, s8
	s_delay_alu instid0(SALU_CYCLE_1) | instskip(NEXT) | instid1(SALU_CYCLE_1)
	s_and_not1_b32 s3, s3, s6
	s_cmp_lg_u32 s3, 0
	s_cbranch_scc1 .LBB2_33
; %bb.34:
	v_mbcnt_lo_u32_b32 v0, exec_lo, 0
	s_mov_b32 s6, 0
	s_mov_b32 s3, exec_lo
	s_delay_alu instid0(VALU_DEP_1)
	v_cmpx_eq_u32_e32 0, v0
	s_xor_b32 s3, exec_lo, s3
	s_cbranch_execz .LBB2_38
; %bb.35:
	v_mov_b32_e32 v4, 0
	ds_load_b64 v[0:1], v4 offset:3840
.LBB2_36:                               ; =>This Inner Loop Header: Depth=1
	s_waitcnt lgkmcnt(0)
	v_add_f64 v[5:6], v[0:1], v[2:3]
	ds_cmpstore_rtn_b64 v[5:6], v4, v[5:6], v[0:1] offset:3840
	s_waitcnt lgkmcnt(0)
	v_cmp_eq_u64_e32 vcc_lo, v[5:6], v[0:1]
	v_dual_mov_b32 v0, v5 :: v_dual_mov_b32 v1, v6
	s_or_b32 s6, vcc_lo, s6
	s_delay_alu instid0(SALU_CYCLE_1)
	s_and_not1_b32 exec_lo, exec_lo, s6
	s_cbranch_execnz .LBB2_36
; %bb.37:
	s_or_b32 exec_lo, exec_lo, s6
.LBB2_38:
	s_delay_alu instid0(SALU_CYCLE_1)
	s_or_b32 exec_lo, exec_lo, s3
	s_waitcnt lgkmcnt(0)
	s_barrier
	buffer_gl0_inv
	s_and_saveexec_b32 s3, s2
	s_cbranch_execz .LBB2_40
; %bb.39:
	s_load_b32 s0, s[0:1], 0x30
	v_mov_b32_e32 v2, 0
	s_mov_b32 s1, 0
	ds_load_b64 v[0:1], v2 offset:3840
	s_waitcnt lgkmcnt(0)
	s_mul_i32 s0, s0, s15
	s_delay_alu instid0(SALU_CYCLE_1) | instskip(NEXT) | instid1(SALU_CYCLE_1)
	s_add_i32 s0, s0, s14
	s_lshl_b64 s[0:1], s[0:1], 3
	s_delay_alu instid0(SALU_CYCLE_1)
	s_add_u32 s0, s4, s0
	s_addc_u32 s1, s5, s1
	global_store_b64 v2, v[0:1], s[0:1]
.LBB2_40:
	s_nop 0
	s_sendmsg sendmsg(MSG_DEALLOC_VGPRS)
	s_endpgm
.LBB2_41:
	v_add_nc_u32_e32 v3, 0x800, v10
	s_mov_b32 s12, 0x652b82fe
	s_mov_b32 s13, 0x3ff71547
	;; [unrolled: 1-line block ×3, first 2 shown]
	ds_load_2addr_b64 v[5:8], v11 offset0:32 offset1:160
	ds_load_2addr_b64 v[12:15], v3 offset0:128 offset1:160
	s_mov_b32 s17, 0x3e5ade15
	s_waitcnt lgkmcnt(0)
	v_add_f64 v[7:8], v[7:8], -v[14:15]
	v_add_f64 v[5:6], v[5:6], -v[12:13]
	ds_load_b64 v[12:13], v4 offset:256
	ds_load_b64 v[14:15], v10 offset:3584
	s_waitcnt lgkmcnt(0)
	v_add_f64 v[12:13], v[12:13], v[14:15]
	v_mul_f64 v[7:8], v[7:8], v[7:8]
	s_delay_alu instid0(VALU_DEP_1) | instskip(NEXT) | instid1(VALU_DEP_1)
	v_fma_f64 v[5:6], v[5:6], v[5:6], v[7:8]
	v_div_scale_f64 v[7:8], null, v[12:13], v[12:13], -v[5:6]
	v_div_scale_f64 v[18:19], vcc_lo, -v[5:6], v[12:13], -v[5:6]
	s_delay_alu instid0(VALU_DEP_2) | instskip(SKIP_2) | instid1(VALU_DEP_1)
	v_rcp_f64_e32 v[14:15], v[7:8]
	s_waitcnt_depctr 0xfff
	v_fma_f64 v[16:17], -v[7:8], v[14:15], 1.0
	v_fma_f64 v[14:15], v[14:15], v[16:17], v[14:15]
	s_delay_alu instid0(VALU_DEP_1) | instskip(NEXT) | instid1(VALU_DEP_1)
	v_fma_f64 v[16:17], -v[7:8], v[14:15], 1.0
	v_fma_f64 v[14:15], v[14:15], v[16:17], v[14:15]
	s_delay_alu instid0(VALU_DEP_1) | instskip(NEXT) | instid1(VALU_DEP_1)
	v_mul_f64 v[16:17], v[18:19], v[14:15]
	v_fma_f64 v[7:8], -v[7:8], v[16:17], v[18:19]
	s_delay_alu instid0(VALU_DEP_1) | instskip(NEXT) | instid1(VALU_DEP_1)
	v_div_fmas_f64 v[7:8], v[7:8], v[14:15], v[16:17]
	v_div_fixup_f64 v[5:6], v[7:8], v[12:13], -v[5:6]
	s_delay_alu instid0(VALU_DEP_1) | instskip(SKIP_4) | instid1(VALU_DEP_3)
	v_mul_f64 v[7:8], v[5:6], s[12:13]
	s_mov_b32 s12, 0xfefa39ef
	s_mov_b32 s13, 0xbfe62e42
	v_cmp_nlt_f64_e32 vcc_lo, 0x40900000, v[5:6]
	v_cmp_ngt_f64_e64 s8, 0xc090cc00, v[5:6]
	v_rndne_f64_e32 v[7:8], v[7:8]
	s_delay_alu instid0(VALU_DEP_1) | instskip(SKIP_3) | instid1(VALU_DEP_2)
	v_fma_f64 v[12:13], v[7:8], s[12:13], v[5:6]
	s_mov_b32 s12, 0x3b39803f
	s_mov_b32 s13, 0xbc7abc9e
	v_cvt_i32_f64_e32 v3, v[7:8]
	v_fma_f64 v[12:13], v[7:8], s[12:13], v[12:13]
	s_mov_b32 s12, 0xfca7ab0c
	s_mov_b32 s13, 0x3e928af3
	s_delay_alu instid0(VALU_DEP_1) | instid1(SALU_CYCLE_1)
	v_fma_f64 v[14:15], v[12:13], s[16:17], s[12:13]
	s_mov_b32 s12, 0x623fde64
	s_mov_b32 s13, 0x3ec71dee
	s_delay_alu instid0(VALU_DEP_1) | instid1(SALU_CYCLE_1)
	;; [unrolled: 4-line block ×9, first 2 shown]
	v_fma_f64 v[14:15], v[12:13], v[14:15], s[12:13]
	s_delay_alu instid0(VALU_DEP_1) | instskip(NEXT) | instid1(VALU_DEP_1)
	v_fma_f64 v[14:15], v[12:13], v[14:15], 1.0
	v_fma_f64 v[7:8], v[12:13], v[14:15], 1.0
	s_delay_alu instid0(VALU_DEP_1) | instskip(NEXT) | instid1(VALU_DEP_1)
	v_ldexp_f64 v[7:8], v[7:8], v3
	v_cndmask_b32_e32 v3, 0x7ff00000, v8, vcc_lo
	s_and_b32 vcc_lo, s8, vcc_lo
	s_delay_alu instid0(VALU_DEP_2) | instskip(NEXT) | instid1(VALU_DEP_2)
	v_cndmask_b32_e32 v5, 0, v7, vcc_lo
	v_cndmask_b32_e64 v6, 0, v3, s8
	s_delay_alu instid0(VALU_DEP_1) | instskip(SKIP_2) | instid1(SALU_CYCLE_1)
	v_add_f64 v[0:1], v[0:1], v[5:6]
	s_or_b32 exec_lo, exec_lo, s9
	s_and_b32 s8, s7, s4
	s_and_saveexec_b32 s9, s8
	s_cbranch_execz .LBB2_18
.LBB2_42:
	v_add_nc_u32_e32 v3, 0x800, v10
	s_mov_b32 s12, 0x652b82fe
	s_mov_b32 s13, 0x3ff71547
	s_mov_b32 s16, 0x6a5dcb37
	ds_load_2addr_b64 v[5:8], v11 offset0:32 offset1:160
	ds_load_2addr_b64 v[12:15], v3 offset0:136 offset1:168
	s_mov_b32 s17, 0x3e5ade15
	s_waitcnt lgkmcnt(0)
	v_add_f64 v[7:8], v[7:8], -v[14:15]
	v_add_f64 v[5:6], v[5:6], -v[12:13]
	ds_load_b64 v[12:13], v4 offset:256
	ds_load_b64 v[14:15], v10 offset:3648
	s_waitcnt lgkmcnt(0)
	v_add_f64 v[12:13], v[12:13], v[14:15]
	v_mul_f64 v[7:8], v[7:8], v[7:8]
	s_delay_alu instid0(VALU_DEP_1) | instskip(NEXT) | instid1(VALU_DEP_1)
	v_fma_f64 v[5:6], v[5:6], v[5:6], v[7:8]
	v_div_scale_f64 v[7:8], null, v[12:13], v[12:13], -v[5:6]
	v_div_scale_f64 v[18:19], vcc_lo, -v[5:6], v[12:13], -v[5:6]
	s_delay_alu instid0(VALU_DEP_2) | instskip(SKIP_2) | instid1(VALU_DEP_1)
	v_rcp_f64_e32 v[14:15], v[7:8]
	s_waitcnt_depctr 0xfff
	v_fma_f64 v[16:17], -v[7:8], v[14:15], 1.0
	v_fma_f64 v[14:15], v[14:15], v[16:17], v[14:15]
	s_delay_alu instid0(VALU_DEP_1) | instskip(NEXT) | instid1(VALU_DEP_1)
	v_fma_f64 v[16:17], -v[7:8], v[14:15], 1.0
	v_fma_f64 v[14:15], v[14:15], v[16:17], v[14:15]
	s_delay_alu instid0(VALU_DEP_1) | instskip(NEXT) | instid1(VALU_DEP_1)
	v_mul_f64 v[16:17], v[18:19], v[14:15]
	v_fma_f64 v[7:8], -v[7:8], v[16:17], v[18:19]
	s_delay_alu instid0(VALU_DEP_1) | instskip(NEXT) | instid1(VALU_DEP_1)
	v_div_fmas_f64 v[7:8], v[7:8], v[14:15], v[16:17]
	v_div_fixup_f64 v[5:6], v[7:8], v[12:13], -v[5:6]
	s_delay_alu instid0(VALU_DEP_1) | instskip(SKIP_4) | instid1(VALU_DEP_3)
	v_mul_f64 v[7:8], v[5:6], s[12:13]
	s_mov_b32 s12, 0xfefa39ef
	s_mov_b32 s13, 0xbfe62e42
	v_cmp_nlt_f64_e32 vcc_lo, 0x40900000, v[5:6]
	v_cmp_ngt_f64_e64 s8, 0xc090cc00, v[5:6]
	v_rndne_f64_e32 v[7:8], v[7:8]
	s_delay_alu instid0(VALU_DEP_1) | instskip(SKIP_3) | instid1(VALU_DEP_2)
	v_fma_f64 v[12:13], v[7:8], s[12:13], v[5:6]
	s_mov_b32 s12, 0x3b39803f
	s_mov_b32 s13, 0xbc7abc9e
	v_cvt_i32_f64_e32 v3, v[7:8]
	v_fma_f64 v[12:13], v[7:8], s[12:13], v[12:13]
	s_mov_b32 s12, 0xfca7ab0c
	s_mov_b32 s13, 0x3e928af3
	s_delay_alu instid0(VALU_DEP_1) | instid1(SALU_CYCLE_1)
	v_fma_f64 v[14:15], v[12:13], s[16:17], s[12:13]
	s_mov_b32 s12, 0x623fde64
	s_mov_b32 s13, 0x3ec71dee
	s_delay_alu instid0(VALU_DEP_1) | instid1(SALU_CYCLE_1)
	;; [unrolled: 4-line block ×9, first 2 shown]
	v_fma_f64 v[14:15], v[12:13], v[14:15], s[12:13]
	s_delay_alu instid0(VALU_DEP_1) | instskip(NEXT) | instid1(VALU_DEP_1)
	v_fma_f64 v[14:15], v[12:13], v[14:15], 1.0
	v_fma_f64 v[7:8], v[12:13], v[14:15], 1.0
	s_delay_alu instid0(VALU_DEP_1) | instskip(NEXT) | instid1(VALU_DEP_1)
	v_ldexp_f64 v[7:8], v[7:8], v3
	v_cndmask_b32_e32 v3, 0x7ff00000, v8, vcc_lo
	s_and_b32 vcc_lo, s8, vcc_lo
	s_delay_alu instid0(VALU_DEP_2) | instskip(NEXT) | instid1(VALU_DEP_2)
	v_cndmask_b32_e32 v5, 0, v7, vcc_lo
	v_cndmask_b32_e64 v6, 0, v3, s8
	s_delay_alu instid0(VALU_DEP_1) | instskip(SKIP_2) | instid1(SALU_CYCLE_1)
	v_add_f64 v[0:1], v[0:1], v[5:6]
	s_or_b32 exec_lo, exec_lo, s9
	s_and_b32 s8, s7, s5
	s_and_saveexec_b32 s9, s8
	s_cbranch_execz .LBB2_19
.LBB2_43:
	v_add_nc_u32_e32 v3, 0x800, v10
	s_mov_b32 s12, 0x652b82fe
	s_mov_b32 s13, 0x3ff71547
	;; [unrolled: 1-line block ×3, first 2 shown]
	ds_load_2addr_b64 v[5:8], v11 offset0:32 offset1:160
	ds_load_2addr_b64 v[12:15], v3 offset0:144 offset1:176
	s_mov_b32 s17, 0x3e5ade15
	s_waitcnt lgkmcnt(0)
	v_add_f64 v[7:8], v[7:8], -v[14:15]
	v_add_f64 v[5:6], v[5:6], -v[12:13]
	ds_load_b64 v[12:13], v4 offset:256
	ds_load_b64 v[14:15], v10 offset:3712
	s_waitcnt lgkmcnt(0)
	v_add_f64 v[12:13], v[12:13], v[14:15]
	v_mul_f64 v[7:8], v[7:8], v[7:8]
	s_delay_alu instid0(VALU_DEP_1) | instskip(NEXT) | instid1(VALU_DEP_1)
	v_fma_f64 v[5:6], v[5:6], v[5:6], v[7:8]
	v_div_scale_f64 v[7:8], null, v[12:13], v[12:13], -v[5:6]
	v_div_scale_f64 v[18:19], vcc_lo, -v[5:6], v[12:13], -v[5:6]
	s_delay_alu instid0(VALU_DEP_2) | instskip(SKIP_2) | instid1(VALU_DEP_1)
	v_rcp_f64_e32 v[14:15], v[7:8]
	s_waitcnt_depctr 0xfff
	v_fma_f64 v[16:17], -v[7:8], v[14:15], 1.0
	v_fma_f64 v[14:15], v[14:15], v[16:17], v[14:15]
	s_delay_alu instid0(VALU_DEP_1) | instskip(NEXT) | instid1(VALU_DEP_1)
	v_fma_f64 v[16:17], -v[7:8], v[14:15], 1.0
	v_fma_f64 v[14:15], v[14:15], v[16:17], v[14:15]
	s_delay_alu instid0(VALU_DEP_1) | instskip(NEXT) | instid1(VALU_DEP_1)
	v_mul_f64 v[16:17], v[18:19], v[14:15]
	v_fma_f64 v[7:8], -v[7:8], v[16:17], v[18:19]
	s_delay_alu instid0(VALU_DEP_1) | instskip(NEXT) | instid1(VALU_DEP_1)
	v_div_fmas_f64 v[7:8], v[7:8], v[14:15], v[16:17]
	v_div_fixup_f64 v[5:6], v[7:8], v[12:13], -v[5:6]
	s_delay_alu instid0(VALU_DEP_1) | instskip(SKIP_4) | instid1(VALU_DEP_3)
	v_mul_f64 v[7:8], v[5:6], s[12:13]
	s_mov_b32 s12, 0xfefa39ef
	s_mov_b32 s13, 0xbfe62e42
	v_cmp_nlt_f64_e32 vcc_lo, 0x40900000, v[5:6]
	v_cmp_ngt_f64_e64 s8, 0xc090cc00, v[5:6]
	v_rndne_f64_e32 v[7:8], v[7:8]
	s_delay_alu instid0(VALU_DEP_1) | instskip(SKIP_3) | instid1(VALU_DEP_2)
	v_fma_f64 v[12:13], v[7:8], s[12:13], v[5:6]
	s_mov_b32 s12, 0x3b39803f
	s_mov_b32 s13, 0xbc7abc9e
	v_cvt_i32_f64_e32 v3, v[7:8]
	v_fma_f64 v[12:13], v[7:8], s[12:13], v[12:13]
	s_mov_b32 s12, 0xfca7ab0c
	s_mov_b32 s13, 0x3e928af3
	s_delay_alu instid0(VALU_DEP_1) | instid1(SALU_CYCLE_1)
	v_fma_f64 v[14:15], v[12:13], s[16:17], s[12:13]
	s_mov_b32 s12, 0x623fde64
	s_mov_b32 s13, 0x3ec71dee
	s_delay_alu instid0(VALU_DEP_1) | instid1(SALU_CYCLE_1)
	;; [unrolled: 4-line block ×9, first 2 shown]
	v_fma_f64 v[14:15], v[12:13], v[14:15], s[12:13]
	s_delay_alu instid0(VALU_DEP_1) | instskip(NEXT) | instid1(VALU_DEP_1)
	v_fma_f64 v[14:15], v[12:13], v[14:15], 1.0
	v_fma_f64 v[7:8], v[12:13], v[14:15], 1.0
	s_delay_alu instid0(VALU_DEP_1) | instskip(NEXT) | instid1(VALU_DEP_1)
	v_ldexp_f64 v[7:8], v[7:8], v3
	v_cndmask_b32_e32 v3, 0x7ff00000, v8, vcc_lo
	s_and_b32 vcc_lo, s8, vcc_lo
	s_delay_alu instid0(VALU_DEP_2) | instskip(NEXT) | instid1(VALU_DEP_2)
	v_cndmask_b32_e32 v5, 0, v7, vcc_lo
	v_cndmask_b32_e64 v6, 0, v3, s8
	s_delay_alu instid0(VALU_DEP_1) | instskip(SKIP_2) | instid1(SALU_CYCLE_1)
	v_add_f64 v[0:1], v[0:1], v[5:6]
	s_or_b32 exec_lo, exec_lo, s9
	s_and_b32 s7, s7, s6
	s_and_saveexec_b32 s8, s7
	s_cbranch_execnz .LBB2_20
	s_branch .LBB2_21
.LBB2_44:
	v_add_nc_u32_e32 v3, 0x800, v10
	s_mov_b32 s12, 0x652b82fe
	s_mov_b32 s13, 0x3ff71547
	;; [unrolled: 1-line block ×3, first 2 shown]
	ds_load_2addr_stride64_b64 v[5:8], v11 offset0:1 offset1:3
	ds_load_2addr_b64 v[12:15], v3 offset0:128 offset1:160
	s_mov_b32 s17, 0x3e5ade15
	s_waitcnt lgkmcnt(0)
	v_add_f64 v[7:8], v[7:8], -v[14:15]
	v_add_f64 v[5:6], v[5:6], -v[12:13]
	ds_load_b64 v[12:13], v4 offset:512
	ds_load_b64 v[14:15], v10 offset:3584
	s_waitcnt lgkmcnt(0)
	v_add_f64 v[12:13], v[12:13], v[14:15]
	v_mul_f64 v[7:8], v[7:8], v[7:8]
	s_delay_alu instid0(VALU_DEP_1) | instskip(NEXT) | instid1(VALU_DEP_1)
	v_fma_f64 v[5:6], v[5:6], v[5:6], v[7:8]
	v_div_scale_f64 v[7:8], null, v[12:13], v[12:13], -v[5:6]
	v_div_scale_f64 v[18:19], vcc_lo, -v[5:6], v[12:13], -v[5:6]
	s_delay_alu instid0(VALU_DEP_2) | instskip(SKIP_2) | instid1(VALU_DEP_1)
	v_rcp_f64_e32 v[14:15], v[7:8]
	s_waitcnt_depctr 0xfff
	v_fma_f64 v[16:17], -v[7:8], v[14:15], 1.0
	v_fma_f64 v[14:15], v[14:15], v[16:17], v[14:15]
	s_delay_alu instid0(VALU_DEP_1) | instskip(NEXT) | instid1(VALU_DEP_1)
	v_fma_f64 v[16:17], -v[7:8], v[14:15], 1.0
	v_fma_f64 v[14:15], v[14:15], v[16:17], v[14:15]
	s_delay_alu instid0(VALU_DEP_1) | instskip(NEXT) | instid1(VALU_DEP_1)
	v_mul_f64 v[16:17], v[18:19], v[14:15]
	v_fma_f64 v[7:8], -v[7:8], v[16:17], v[18:19]
	s_delay_alu instid0(VALU_DEP_1) | instskip(NEXT) | instid1(VALU_DEP_1)
	v_div_fmas_f64 v[7:8], v[7:8], v[14:15], v[16:17]
	v_div_fixup_f64 v[5:6], v[7:8], v[12:13], -v[5:6]
	s_delay_alu instid0(VALU_DEP_1) | instskip(SKIP_4) | instid1(VALU_DEP_3)
	v_mul_f64 v[7:8], v[5:6], s[12:13]
	s_mov_b32 s12, 0xfefa39ef
	s_mov_b32 s13, 0xbfe62e42
	v_cmp_nlt_f64_e32 vcc_lo, 0x40900000, v[5:6]
	v_cmp_ngt_f64_e64 s8, 0xc090cc00, v[5:6]
	v_rndne_f64_e32 v[7:8], v[7:8]
	s_delay_alu instid0(VALU_DEP_1) | instskip(SKIP_3) | instid1(VALU_DEP_2)
	v_fma_f64 v[12:13], v[7:8], s[12:13], v[5:6]
	s_mov_b32 s12, 0x3b39803f
	s_mov_b32 s13, 0xbc7abc9e
	v_cvt_i32_f64_e32 v3, v[7:8]
	v_fma_f64 v[12:13], v[7:8], s[12:13], v[12:13]
	s_mov_b32 s12, 0xfca7ab0c
	s_mov_b32 s13, 0x3e928af3
	s_delay_alu instid0(VALU_DEP_1) | instid1(SALU_CYCLE_1)
	v_fma_f64 v[14:15], v[12:13], s[16:17], s[12:13]
	s_mov_b32 s12, 0x623fde64
	s_mov_b32 s13, 0x3ec71dee
	s_delay_alu instid0(VALU_DEP_1) | instid1(SALU_CYCLE_1)
	;; [unrolled: 4-line block ×9, first 2 shown]
	v_fma_f64 v[14:15], v[12:13], v[14:15], s[12:13]
	s_delay_alu instid0(VALU_DEP_1) | instskip(NEXT) | instid1(VALU_DEP_1)
	v_fma_f64 v[14:15], v[12:13], v[14:15], 1.0
	v_fma_f64 v[7:8], v[12:13], v[14:15], 1.0
	s_delay_alu instid0(VALU_DEP_1) | instskip(NEXT) | instid1(VALU_DEP_1)
	v_ldexp_f64 v[7:8], v[7:8], v3
	v_cndmask_b32_e32 v3, 0x7ff00000, v8, vcc_lo
	s_and_b32 vcc_lo, s8, vcc_lo
	s_delay_alu instid0(VALU_DEP_2) | instskip(NEXT) | instid1(VALU_DEP_2)
	v_cndmask_b32_e32 v5, 0, v7, vcc_lo
	v_cndmask_b32_e64 v6, 0, v3, s8
	s_delay_alu instid0(VALU_DEP_1) | instskip(SKIP_2) | instid1(SALU_CYCLE_1)
	v_add_f64 v[0:1], v[0:1], v[5:6]
	s_or_b32 exec_lo, exec_lo, s9
	s_and_b32 s8, s7, s4
	s_and_saveexec_b32 s9, s8
	s_cbranch_execz .LBB2_23
.LBB2_45:
	v_add_nc_u32_e32 v3, 0x800, v10
	s_mov_b32 s12, 0x652b82fe
	s_mov_b32 s13, 0x3ff71547
	;; [unrolled: 1-line block ×3, first 2 shown]
	ds_load_2addr_stride64_b64 v[5:8], v11 offset0:1 offset1:3
	ds_load_2addr_b64 v[12:15], v3 offset0:136 offset1:168
	s_mov_b32 s17, 0x3e5ade15
	s_waitcnt lgkmcnt(0)
	v_add_f64 v[7:8], v[7:8], -v[14:15]
	v_add_f64 v[5:6], v[5:6], -v[12:13]
	ds_load_b64 v[12:13], v4 offset:512
	ds_load_b64 v[14:15], v10 offset:3648
	s_waitcnt lgkmcnt(0)
	v_add_f64 v[12:13], v[12:13], v[14:15]
	v_mul_f64 v[7:8], v[7:8], v[7:8]
	s_delay_alu instid0(VALU_DEP_1) | instskip(NEXT) | instid1(VALU_DEP_1)
	v_fma_f64 v[5:6], v[5:6], v[5:6], v[7:8]
	v_div_scale_f64 v[7:8], null, v[12:13], v[12:13], -v[5:6]
	v_div_scale_f64 v[18:19], vcc_lo, -v[5:6], v[12:13], -v[5:6]
	s_delay_alu instid0(VALU_DEP_2) | instskip(SKIP_2) | instid1(VALU_DEP_1)
	v_rcp_f64_e32 v[14:15], v[7:8]
	s_waitcnt_depctr 0xfff
	v_fma_f64 v[16:17], -v[7:8], v[14:15], 1.0
	v_fma_f64 v[14:15], v[14:15], v[16:17], v[14:15]
	s_delay_alu instid0(VALU_DEP_1) | instskip(NEXT) | instid1(VALU_DEP_1)
	v_fma_f64 v[16:17], -v[7:8], v[14:15], 1.0
	v_fma_f64 v[14:15], v[14:15], v[16:17], v[14:15]
	s_delay_alu instid0(VALU_DEP_1) | instskip(NEXT) | instid1(VALU_DEP_1)
	v_mul_f64 v[16:17], v[18:19], v[14:15]
	v_fma_f64 v[7:8], -v[7:8], v[16:17], v[18:19]
	s_delay_alu instid0(VALU_DEP_1) | instskip(NEXT) | instid1(VALU_DEP_1)
	v_div_fmas_f64 v[7:8], v[7:8], v[14:15], v[16:17]
	v_div_fixup_f64 v[5:6], v[7:8], v[12:13], -v[5:6]
	s_delay_alu instid0(VALU_DEP_1) | instskip(SKIP_4) | instid1(VALU_DEP_3)
	v_mul_f64 v[7:8], v[5:6], s[12:13]
	s_mov_b32 s12, 0xfefa39ef
	s_mov_b32 s13, 0xbfe62e42
	v_cmp_nlt_f64_e32 vcc_lo, 0x40900000, v[5:6]
	v_cmp_ngt_f64_e64 s8, 0xc090cc00, v[5:6]
	v_rndne_f64_e32 v[7:8], v[7:8]
	s_delay_alu instid0(VALU_DEP_1) | instskip(SKIP_3) | instid1(VALU_DEP_2)
	v_fma_f64 v[12:13], v[7:8], s[12:13], v[5:6]
	s_mov_b32 s12, 0x3b39803f
	s_mov_b32 s13, 0xbc7abc9e
	v_cvt_i32_f64_e32 v3, v[7:8]
	v_fma_f64 v[12:13], v[7:8], s[12:13], v[12:13]
	s_mov_b32 s12, 0xfca7ab0c
	s_mov_b32 s13, 0x3e928af3
	s_delay_alu instid0(VALU_DEP_1) | instid1(SALU_CYCLE_1)
	v_fma_f64 v[14:15], v[12:13], s[16:17], s[12:13]
	s_mov_b32 s12, 0x623fde64
	s_mov_b32 s13, 0x3ec71dee
	s_delay_alu instid0(VALU_DEP_1) | instid1(SALU_CYCLE_1)
	;; [unrolled: 4-line block ×9, first 2 shown]
	v_fma_f64 v[14:15], v[12:13], v[14:15], s[12:13]
	s_delay_alu instid0(VALU_DEP_1) | instskip(NEXT) | instid1(VALU_DEP_1)
	v_fma_f64 v[14:15], v[12:13], v[14:15], 1.0
	v_fma_f64 v[7:8], v[12:13], v[14:15], 1.0
	s_delay_alu instid0(VALU_DEP_1) | instskip(NEXT) | instid1(VALU_DEP_1)
	v_ldexp_f64 v[7:8], v[7:8], v3
	v_cndmask_b32_e32 v3, 0x7ff00000, v8, vcc_lo
	s_and_b32 vcc_lo, s8, vcc_lo
	s_delay_alu instid0(VALU_DEP_2) | instskip(NEXT) | instid1(VALU_DEP_2)
	v_cndmask_b32_e32 v5, 0, v7, vcc_lo
	v_cndmask_b32_e64 v6, 0, v3, s8
	s_delay_alu instid0(VALU_DEP_1) | instskip(SKIP_2) | instid1(SALU_CYCLE_1)
	v_add_f64 v[0:1], v[0:1], v[5:6]
	s_or_b32 exec_lo, exec_lo, s9
	s_and_b32 s8, s7, s5
	s_and_saveexec_b32 s9, s8
	s_cbranch_execz .LBB2_24
.LBB2_46:
	v_add_nc_u32_e32 v3, 0x800, v10
	s_mov_b32 s12, 0x652b82fe
	s_mov_b32 s13, 0x3ff71547
	s_mov_b32 s16, 0x6a5dcb37
	ds_load_2addr_stride64_b64 v[5:8], v11 offset0:1 offset1:3
	ds_load_2addr_b64 v[12:15], v3 offset0:144 offset1:176
	s_mov_b32 s17, 0x3e5ade15
	s_waitcnt lgkmcnt(0)
	v_add_f64 v[7:8], v[7:8], -v[14:15]
	v_add_f64 v[5:6], v[5:6], -v[12:13]
	ds_load_b64 v[12:13], v4 offset:512
	ds_load_b64 v[14:15], v10 offset:3712
	s_waitcnt lgkmcnt(0)
	v_add_f64 v[12:13], v[12:13], v[14:15]
	v_mul_f64 v[7:8], v[7:8], v[7:8]
	s_delay_alu instid0(VALU_DEP_1) | instskip(NEXT) | instid1(VALU_DEP_1)
	v_fma_f64 v[5:6], v[5:6], v[5:6], v[7:8]
	v_div_scale_f64 v[7:8], null, v[12:13], v[12:13], -v[5:6]
	v_div_scale_f64 v[18:19], vcc_lo, -v[5:6], v[12:13], -v[5:6]
	s_delay_alu instid0(VALU_DEP_2) | instskip(SKIP_2) | instid1(VALU_DEP_1)
	v_rcp_f64_e32 v[14:15], v[7:8]
	s_waitcnt_depctr 0xfff
	v_fma_f64 v[16:17], -v[7:8], v[14:15], 1.0
	v_fma_f64 v[14:15], v[14:15], v[16:17], v[14:15]
	s_delay_alu instid0(VALU_DEP_1) | instskip(NEXT) | instid1(VALU_DEP_1)
	v_fma_f64 v[16:17], -v[7:8], v[14:15], 1.0
	v_fma_f64 v[14:15], v[14:15], v[16:17], v[14:15]
	s_delay_alu instid0(VALU_DEP_1) | instskip(NEXT) | instid1(VALU_DEP_1)
	v_mul_f64 v[16:17], v[18:19], v[14:15]
	v_fma_f64 v[7:8], -v[7:8], v[16:17], v[18:19]
	s_delay_alu instid0(VALU_DEP_1) | instskip(NEXT) | instid1(VALU_DEP_1)
	v_div_fmas_f64 v[7:8], v[7:8], v[14:15], v[16:17]
	v_div_fixup_f64 v[5:6], v[7:8], v[12:13], -v[5:6]
	s_delay_alu instid0(VALU_DEP_1) | instskip(SKIP_4) | instid1(VALU_DEP_3)
	v_mul_f64 v[7:8], v[5:6], s[12:13]
	s_mov_b32 s12, 0xfefa39ef
	s_mov_b32 s13, 0xbfe62e42
	v_cmp_nlt_f64_e32 vcc_lo, 0x40900000, v[5:6]
	v_cmp_ngt_f64_e64 s8, 0xc090cc00, v[5:6]
	v_rndne_f64_e32 v[7:8], v[7:8]
	s_delay_alu instid0(VALU_DEP_1) | instskip(SKIP_3) | instid1(VALU_DEP_2)
	v_fma_f64 v[12:13], v[7:8], s[12:13], v[5:6]
	s_mov_b32 s12, 0x3b39803f
	s_mov_b32 s13, 0xbc7abc9e
	v_cvt_i32_f64_e32 v3, v[7:8]
	v_fma_f64 v[12:13], v[7:8], s[12:13], v[12:13]
	s_mov_b32 s12, 0xfca7ab0c
	s_mov_b32 s13, 0x3e928af3
	s_delay_alu instid0(VALU_DEP_1) | instid1(SALU_CYCLE_1)
	v_fma_f64 v[14:15], v[12:13], s[16:17], s[12:13]
	s_mov_b32 s12, 0x623fde64
	s_mov_b32 s13, 0x3ec71dee
	s_delay_alu instid0(VALU_DEP_1) | instid1(SALU_CYCLE_1)
	;; [unrolled: 4-line block ×9, first 2 shown]
	v_fma_f64 v[14:15], v[12:13], v[14:15], s[12:13]
	s_delay_alu instid0(VALU_DEP_1) | instskip(NEXT) | instid1(VALU_DEP_1)
	v_fma_f64 v[14:15], v[12:13], v[14:15], 1.0
	v_fma_f64 v[7:8], v[12:13], v[14:15], 1.0
	s_delay_alu instid0(VALU_DEP_1) | instskip(NEXT) | instid1(VALU_DEP_1)
	v_ldexp_f64 v[7:8], v[7:8], v3
	v_cndmask_b32_e32 v3, 0x7ff00000, v8, vcc_lo
	s_and_b32 vcc_lo, s8, vcc_lo
	s_delay_alu instid0(VALU_DEP_2) | instskip(NEXT) | instid1(VALU_DEP_2)
	v_cndmask_b32_e32 v5, 0, v7, vcc_lo
	v_cndmask_b32_e64 v6, 0, v3, s8
	s_delay_alu instid0(VALU_DEP_1) | instskip(SKIP_2) | instid1(SALU_CYCLE_1)
	v_add_f64 v[0:1], v[0:1], v[5:6]
	s_or_b32 exec_lo, exec_lo, s9
	s_and_b32 s7, s7, s6
	s_and_saveexec_b32 s8, s7
	s_cbranch_execnz .LBB2_25
	s_branch .LBB2_26
.LBB2_47:
	v_add_nc_u32_e32 v2, 0x800, v10
	s_mov_b32 s10, 0x652b82fe
	s_mov_b32 s11, 0x3ff71547
	;; [unrolled: 1-line block ×3, first 2 shown]
	ds_load_2addr_b64 v[5:8], v11 offset0:96 offset1:224
	ds_load_2addr_b64 v[12:15], v2 offset0:128 offset1:160
	s_mov_b32 s13, 0x3e5ade15
	s_waitcnt lgkmcnt(0)
	v_add_f64 v[2:3], v[7:8], -v[14:15]
	v_add_f64 v[5:6], v[5:6], -v[12:13]
	ds_load_b64 v[7:8], v4 offset:768
	ds_load_b64 v[12:13], v10 offset:3584
	s_waitcnt lgkmcnt(0)
	v_add_f64 v[7:8], v[7:8], v[12:13]
	v_mul_f64 v[2:3], v[2:3], v[2:3]
	s_delay_alu instid0(VALU_DEP_1) | instskip(NEXT) | instid1(VALU_DEP_1)
	v_fma_f64 v[2:3], v[5:6], v[5:6], v[2:3]
	v_div_scale_f64 v[5:6], null, v[7:8], v[7:8], -v[2:3]
	v_div_scale_f64 v[16:17], vcc_lo, -v[2:3], v[7:8], -v[2:3]
	s_delay_alu instid0(VALU_DEP_2) | instskip(SKIP_2) | instid1(VALU_DEP_1)
	v_rcp_f64_e32 v[12:13], v[5:6]
	s_waitcnt_depctr 0xfff
	v_fma_f64 v[14:15], -v[5:6], v[12:13], 1.0
	v_fma_f64 v[12:13], v[12:13], v[14:15], v[12:13]
	s_delay_alu instid0(VALU_DEP_1) | instskip(NEXT) | instid1(VALU_DEP_1)
	v_fma_f64 v[14:15], -v[5:6], v[12:13], 1.0
	v_fma_f64 v[12:13], v[12:13], v[14:15], v[12:13]
	s_delay_alu instid0(VALU_DEP_1) | instskip(NEXT) | instid1(VALU_DEP_1)
	v_mul_f64 v[14:15], v[16:17], v[12:13]
	v_fma_f64 v[5:6], -v[5:6], v[14:15], v[16:17]
	s_delay_alu instid0(VALU_DEP_1) | instskip(NEXT) | instid1(VALU_DEP_1)
	v_div_fmas_f64 v[5:6], v[5:6], v[12:13], v[14:15]
	v_div_fixup_f64 v[2:3], v[5:6], v[7:8], -v[2:3]
	s_delay_alu instid0(VALU_DEP_1) | instskip(SKIP_4) | instid1(VALU_DEP_3)
	v_mul_f64 v[5:6], v[2:3], s[10:11]
	s_mov_b32 s10, 0xfefa39ef
	s_mov_b32 s11, 0xbfe62e42
	v_cmp_nlt_f64_e32 vcc_lo, 0x40900000, v[2:3]
	v_cmp_ngt_f64_e64 s3, 0xc090cc00, v[2:3]
	v_rndne_f64_e32 v[5:6], v[5:6]
	s_delay_alu instid0(VALU_DEP_1) | instskip(SKIP_3) | instid1(VALU_DEP_2)
	v_fma_f64 v[7:8], v[5:6], s[10:11], v[2:3]
	s_mov_b32 s10, 0x3b39803f
	s_mov_b32 s11, 0xbc7abc9e
	v_cvt_i32_f64_e32 v9, v[5:6]
	v_fma_f64 v[7:8], v[5:6], s[10:11], v[7:8]
	s_mov_b32 s10, 0xfca7ab0c
	s_mov_b32 s11, 0x3e928af3
	s_delay_alu instid0(VALU_DEP_1) | instid1(SALU_CYCLE_1)
	v_fma_f64 v[12:13], v[7:8], s[12:13], s[10:11]
	s_mov_b32 s10, 0x623fde64
	s_mov_b32 s11, 0x3ec71dee
	s_delay_alu instid0(VALU_DEP_1) | instid1(SALU_CYCLE_1)
	;; [unrolled: 4-line block ×9, first 2 shown]
	v_fma_f64 v[12:13], v[7:8], v[12:13], s[10:11]
	s_delay_alu instid0(VALU_DEP_1) | instskip(NEXT) | instid1(VALU_DEP_1)
	v_fma_f64 v[12:13], v[7:8], v[12:13], 1.0
	v_fma_f64 v[5:6], v[7:8], v[12:13], 1.0
	s_delay_alu instid0(VALU_DEP_1) | instskip(NEXT) | instid1(VALU_DEP_1)
	v_ldexp_f64 v[5:6], v[5:6], v9
	v_cndmask_b32_e32 v6, 0x7ff00000, v6, vcc_lo
	s_and_b32 vcc_lo, s3, vcc_lo
	s_delay_alu instid0(VALU_DEP_2) | instskip(NEXT) | instid1(VALU_DEP_2)
	v_cndmask_b32_e32 v2, 0, v5, vcc_lo
	v_cndmask_b32_e64 v3, 0, v6, s3
	s_delay_alu instid0(VALU_DEP_1) | instskip(SKIP_2) | instid1(SALU_CYCLE_1)
	v_add_f64 v[0:1], v[0:1], v[2:3]
	s_or_b32 exec_lo, exec_lo, s8
	s_and_b32 s3, s7, s4
	s_and_saveexec_b32 s4, s3
	s_cbranch_execz .LBB2_28
.LBB2_48:
	v_add_nc_u32_e32 v2, 0x800, v10
	s_mov_b32 s8, 0x652b82fe
	s_mov_b32 s9, 0x3ff71547
	;; [unrolled: 1-line block ×3, first 2 shown]
	ds_load_2addr_b64 v[5:8], v11 offset0:96 offset1:224
	ds_load_2addr_b64 v[12:15], v2 offset0:136 offset1:168
	s_mov_b32 s11, 0x3e5ade15
	s_waitcnt lgkmcnt(0)
	v_add_f64 v[2:3], v[7:8], -v[14:15]
	v_add_f64 v[5:6], v[5:6], -v[12:13]
	ds_load_b64 v[7:8], v4 offset:768
	ds_load_b64 v[12:13], v10 offset:3648
	s_waitcnt lgkmcnt(0)
	v_add_f64 v[7:8], v[7:8], v[12:13]
	v_mul_f64 v[2:3], v[2:3], v[2:3]
	s_delay_alu instid0(VALU_DEP_1) | instskip(NEXT) | instid1(VALU_DEP_1)
	v_fma_f64 v[2:3], v[5:6], v[5:6], v[2:3]
	v_div_scale_f64 v[5:6], null, v[7:8], v[7:8], -v[2:3]
	v_div_scale_f64 v[16:17], vcc_lo, -v[2:3], v[7:8], -v[2:3]
	s_delay_alu instid0(VALU_DEP_2) | instskip(SKIP_2) | instid1(VALU_DEP_1)
	v_rcp_f64_e32 v[12:13], v[5:6]
	s_waitcnt_depctr 0xfff
	v_fma_f64 v[14:15], -v[5:6], v[12:13], 1.0
	v_fma_f64 v[12:13], v[12:13], v[14:15], v[12:13]
	s_delay_alu instid0(VALU_DEP_1) | instskip(NEXT) | instid1(VALU_DEP_1)
	v_fma_f64 v[14:15], -v[5:6], v[12:13], 1.0
	v_fma_f64 v[12:13], v[12:13], v[14:15], v[12:13]
	s_delay_alu instid0(VALU_DEP_1) | instskip(NEXT) | instid1(VALU_DEP_1)
	v_mul_f64 v[14:15], v[16:17], v[12:13]
	v_fma_f64 v[5:6], -v[5:6], v[14:15], v[16:17]
	s_delay_alu instid0(VALU_DEP_1) | instskip(NEXT) | instid1(VALU_DEP_1)
	v_div_fmas_f64 v[5:6], v[5:6], v[12:13], v[14:15]
	v_div_fixup_f64 v[2:3], v[5:6], v[7:8], -v[2:3]
	s_delay_alu instid0(VALU_DEP_1) | instskip(SKIP_4) | instid1(VALU_DEP_3)
	v_mul_f64 v[5:6], v[2:3], s[8:9]
	s_mov_b32 s8, 0xfefa39ef
	s_mov_b32 s9, 0xbfe62e42
	v_cmp_nlt_f64_e32 vcc_lo, 0x40900000, v[2:3]
	v_cmp_ngt_f64_e64 s3, 0xc090cc00, v[2:3]
	v_rndne_f64_e32 v[5:6], v[5:6]
	s_delay_alu instid0(VALU_DEP_1) | instskip(SKIP_3) | instid1(VALU_DEP_2)
	v_fma_f64 v[7:8], v[5:6], s[8:9], v[2:3]
	s_mov_b32 s8, 0x3b39803f
	s_mov_b32 s9, 0xbc7abc9e
	v_cvt_i32_f64_e32 v9, v[5:6]
	v_fma_f64 v[7:8], v[5:6], s[8:9], v[7:8]
	s_mov_b32 s8, 0xfca7ab0c
	s_mov_b32 s9, 0x3e928af3
	s_delay_alu instid0(VALU_DEP_1) | instid1(SALU_CYCLE_1)
	v_fma_f64 v[12:13], v[7:8], s[10:11], s[8:9]
	s_mov_b32 s8, 0x623fde64
	s_mov_b32 s9, 0x3ec71dee
	s_delay_alu instid0(VALU_DEP_1) | instid1(SALU_CYCLE_1)
	;; [unrolled: 4-line block ×9, first 2 shown]
	v_fma_f64 v[12:13], v[7:8], v[12:13], s[8:9]
	s_delay_alu instid0(VALU_DEP_1) | instskip(NEXT) | instid1(VALU_DEP_1)
	v_fma_f64 v[12:13], v[7:8], v[12:13], 1.0
	v_fma_f64 v[5:6], v[7:8], v[12:13], 1.0
	s_delay_alu instid0(VALU_DEP_1) | instskip(NEXT) | instid1(VALU_DEP_1)
	v_ldexp_f64 v[5:6], v[5:6], v9
	v_cndmask_b32_e32 v6, 0x7ff00000, v6, vcc_lo
	s_and_b32 vcc_lo, s3, vcc_lo
	s_delay_alu instid0(VALU_DEP_2) | instskip(NEXT) | instid1(VALU_DEP_2)
	v_cndmask_b32_e32 v2, 0, v5, vcc_lo
	v_cndmask_b32_e64 v3, 0, v6, s3
	s_delay_alu instid0(VALU_DEP_1) | instskip(SKIP_2) | instid1(SALU_CYCLE_1)
	v_add_f64 v[0:1], v[0:1], v[2:3]
	s_or_b32 exec_lo, exec_lo, s4
	s_and_b32 s3, s7, s5
	s_and_saveexec_b32 s4, s3
	s_cbranch_execnz .LBB2_29
	s_branch .LBB2_30
	.section	.rodata,"a",@progbits
	.p2align	6, 0x0
	.amdhsa_kernel _Z8distanceIdEvPKT_S2_iiS2_S2_PS0_
		.amdhsa_group_segment_fixed_size 3848
		.amdhsa_private_segment_fixed_size 0
		.amdhsa_kernarg_size 304
		.amdhsa_user_sgpr_count 14
		.amdhsa_user_sgpr_dispatch_ptr 0
		.amdhsa_user_sgpr_queue_ptr 0
		.amdhsa_user_sgpr_kernarg_segment_ptr 1
		.amdhsa_user_sgpr_dispatch_id 0
		.amdhsa_user_sgpr_private_segment_size 0
		.amdhsa_wavefront_size32 1
		.amdhsa_uses_dynamic_stack 0
		.amdhsa_enable_private_segment 0
		.amdhsa_system_sgpr_workgroup_id_x 1
		.amdhsa_system_sgpr_workgroup_id_y 1
		.amdhsa_system_sgpr_workgroup_id_z 0
		.amdhsa_system_sgpr_workgroup_info 0
		.amdhsa_system_vgpr_workitem_id 1
		.amdhsa_next_free_vgpr 21
		.amdhsa_next_free_sgpr 18
		.amdhsa_reserve_vcc 1
		.amdhsa_float_round_mode_32 0
		.amdhsa_float_round_mode_16_64 0
		.amdhsa_float_denorm_mode_32 3
		.amdhsa_float_denorm_mode_16_64 3
		.amdhsa_dx10_clamp 1
		.amdhsa_ieee_mode 1
		.amdhsa_fp16_overflow 0
		.amdhsa_workgroup_processor_mode 1
		.amdhsa_memory_ordered 1
		.amdhsa_forward_progress 0
		.amdhsa_shared_vgpr_count 0
		.amdhsa_exception_fp_ieee_invalid_op 0
		.amdhsa_exception_fp_denorm_src 0
		.amdhsa_exception_fp_ieee_div_zero 0
		.amdhsa_exception_fp_ieee_overflow 0
		.amdhsa_exception_fp_ieee_underflow 0
		.amdhsa_exception_fp_ieee_inexact 0
		.amdhsa_exception_int_div_zero 0
	.end_amdhsa_kernel
	.section	.text._Z8distanceIdEvPKT_S2_iiS2_S2_PS0_,"axG",@progbits,_Z8distanceIdEvPKT_S2_iiS2_S2_PS0_,comdat
.Lfunc_end2:
	.size	_Z8distanceIdEvPKT_S2_iiS2_S2_PS0_, .Lfunc_end2-_Z8distanceIdEvPKT_S2_iiS2_S2_PS0_
                                        ; -- End function
	.section	.AMDGPU.csdata,"",@progbits
; Kernel info:
; codeLenInByte = 11872
; NumSgprs: 20
; NumVgprs: 21
; ScratchSize: 0
; MemoryBound: 0
; FloatMode: 240
; IeeeMode: 1
; LDSByteSize: 3848 bytes/workgroup (compile time only)
; SGPRBlocks: 2
; VGPRBlocks: 2
; NumSGPRsForWavesPerEU: 20
; NumVGPRsForWavesPerEU: 21
; Occupancy: 16
; WaveLimiterHint : 1
; COMPUTE_PGM_RSRC2:SCRATCH_EN: 0
; COMPUTE_PGM_RSRC2:USER_SGPR: 14
; COMPUTE_PGM_RSRC2:TRAP_HANDLER: 0
; COMPUTE_PGM_RSRC2:TGID_X_EN: 1
; COMPUTE_PGM_RSRC2:TGID_Y_EN: 1
; COMPUTE_PGM_RSRC2:TGID_Z_EN: 0
; COMPUTE_PGM_RSRC2:TIDIG_COMP_CNT: 1
	.section	.text._Z17reduce_cross_termIdEvPT_PKS0_iii,"axG",@progbits,_Z17reduce_cross_termIdEvPT_PKS0_iii,comdat
	.protected	_Z17reduce_cross_termIdEvPT_PKS0_iii ; -- Begin function _Z17reduce_cross_termIdEvPT_PKS0_iii
	.globl	_Z17reduce_cross_termIdEvPT_PKS0_iii
	.p2align	8
	.type	_Z17reduce_cross_termIdEvPT_PKS0_iii,@function
_Z17reduce_cross_termIdEvPT_PKS0_iii:   ; @_Z17reduce_cross_termIdEvPT_PKS0_iii
; %bb.0:
	v_cmp_eq_u32_e32 vcc_lo, 0, v0
	s_and_saveexec_b32 s2, vcc_lo
	s_cbranch_execz .LBB3_2
; %bb.1:
	v_mov_b32_e32 v1, 0
	s_delay_alu instid0(VALU_DEP_1)
	v_mov_b32_e32 v2, v1
	ds_store_b64 v1, v[1:2]
.LBB3_2:
	s_or_b32 exec_lo, exec_lo, s2
	s_clause 0x1
	s_load_b32 s3, s[0:1], 0x18
	s_load_b64 s[4:5], s[0:1], 0x0
	v_mov_b32_e32 v1, 0
	v_mov_b32_e32 v2, 0
	s_mov_b32 s6, exec_lo
	s_waitcnt lgkmcnt(0)
	s_barrier
	buffer_gl0_inv
	v_cmpx_gt_i32_e64 s3, v0
	s_cbranch_execz .LBB3_6
; %bb.3:
	s_load_b64 s[0:1], s[0:1], 0x8
	v_lshlrev_b32_e32 v3, 3, v0
	v_mov_b32_e32 v1, 0
	v_mov_b32_e32 v2, 0
	s_mov_b32 s2, 0
	s_waitcnt lgkmcnt(0)
	v_add_co_u32 v3, s0, s0, v3
	s_delay_alu instid0(VALU_DEP_1)
	v_add_co_ci_u32_e64 v4, null, s1, 0, s0
.LBB3_4:                                ; =>This Inner Loop Header: Depth=1
	global_load_b64 v[5:6], v[3:4], off
	v_add_nc_u32_e32 v0, 0x100, v0
	v_add_co_u32 v3, s1, 0x800, v3
	s_delay_alu instid0(VALU_DEP_1) | instskip(NEXT) | instid1(VALU_DEP_3)
	v_add_co_ci_u32_e64 v4, s1, 0, v4, s1
	v_cmp_le_i32_e64 s0, s3, v0
	s_delay_alu instid0(VALU_DEP_1)
	s_or_b32 s2, s0, s2
	s_waitcnt vmcnt(0)
	v_add_f64 v[1:2], v[1:2], v[5:6]
	s_and_not1_b32 exec_lo, exec_lo, s2
	s_cbranch_execnz .LBB3_4
; %bb.5:
	s_or_b32 exec_lo, exec_lo, s2
.LBB3_6:
	s_delay_alu instid0(SALU_CYCLE_1)
	s_or_b32 exec_lo, exec_lo, s6
	v_mov_b32_e32 v3, 0
	v_bfrev_b32_e32 v4, 1
	s_mov_b32 s0, exec_lo
.LBB3_7:                                ; =>This Inner Loop Header: Depth=1
	s_delay_alu instid0(SALU_CYCLE_1)
	s_ctz_i32_b32 s1, s0
	s_delay_alu instid0(VALU_DEP_3) | instid1(SALU_CYCLE_1)
	v_readlane_b32 s3, v2, s1
	s_delay_alu instid0(VALU_DEP_4) | instskip(SKIP_1) | instid1(SALU_CYCLE_1)
	v_readlane_b32 s2, v1, s1
	s_lshl_b32 s1, 1, s1
	s_and_not1_b32 s0, s0, s1
	s_delay_alu instid0(VALU_DEP_1)
	v_add_f64 v[3:4], v[3:4], s[2:3]
	s_cmp_lg_u32 s0, 0
	s_cbranch_scc1 .LBB3_7
; %bb.8:
	v_mbcnt_lo_u32_b32 v0, exec_lo, 0
	s_mov_b32 s2, 0
	s_mov_b32 s1, exec_lo
	s_delay_alu instid0(VALU_DEP_1)
	v_cmpx_eq_u32_e32 0, v0
	s_xor_b32 s1, exec_lo, s1
	s_cbranch_execz .LBB3_12
; %bb.9:
	v_mov_b32_e32 v2, 0
	ds_load_b64 v[0:1], v2
.LBB3_10:                               ; =>This Inner Loop Header: Depth=1
	s_waitcnt lgkmcnt(0)
	v_add_f64 v[5:6], v[0:1], v[3:4]
	ds_cmpstore_rtn_b64 v[5:6], v2, v[5:6], v[0:1]
	s_waitcnt lgkmcnt(0)
	v_cmp_eq_u64_e64 s0, v[5:6], v[0:1]
	v_dual_mov_b32 v0, v5 :: v_dual_mov_b32 v1, v6
	s_delay_alu instid0(VALU_DEP_2) | instskip(NEXT) | instid1(SALU_CYCLE_1)
	s_or_b32 s2, s0, s2
	s_and_not1_b32 exec_lo, exec_lo, s2
	s_cbranch_execnz .LBB3_10
; %bb.11:
	s_or_b32 exec_lo, exec_lo, s2
.LBB3_12:
	s_delay_alu instid0(SALU_CYCLE_1)
	s_or_b32 exec_lo, exec_lo, s1
	s_barrier
	buffer_gl0_inv
	s_and_saveexec_b32 s0, vcc_lo
	s_cbranch_execz .LBB3_14
; %bb.13:
	v_mov_b32_e32 v2, 0
	ds_load_b64 v[0:1], v2
	s_waitcnt lgkmcnt(0)
	global_store_b64 v2, v[0:1], s[4:5]
.LBB3_14:
	s_nop 0
	s_sendmsg sendmsg(MSG_DEALLOC_VGPRS)
	s_endpgm
	.section	.rodata,"a",@progbits
	.p2align	6, 0x0
	.amdhsa_kernel _Z17reduce_cross_termIdEvPT_PKS0_iii
		.amdhsa_group_segment_fixed_size 8
		.amdhsa_private_segment_fixed_size 0
		.amdhsa_kernarg_size 28
		.amdhsa_user_sgpr_count 15
		.amdhsa_user_sgpr_dispatch_ptr 0
		.amdhsa_user_sgpr_queue_ptr 0
		.amdhsa_user_sgpr_kernarg_segment_ptr 1
		.amdhsa_user_sgpr_dispatch_id 0
		.amdhsa_user_sgpr_private_segment_size 0
		.amdhsa_wavefront_size32 1
		.amdhsa_uses_dynamic_stack 0
		.amdhsa_enable_private_segment 0
		.amdhsa_system_sgpr_workgroup_id_x 1
		.amdhsa_system_sgpr_workgroup_id_y 0
		.amdhsa_system_sgpr_workgroup_id_z 0
		.amdhsa_system_sgpr_workgroup_info 0
		.amdhsa_system_vgpr_workitem_id 0
		.amdhsa_next_free_vgpr 7
		.amdhsa_next_free_sgpr 7
		.amdhsa_reserve_vcc 1
		.amdhsa_float_round_mode_32 0
		.amdhsa_float_round_mode_16_64 0
		.amdhsa_float_denorm_mode_32 3
		.amdhsa_float_denorm_mode_16_64 3
		.amdhsa_dx10_clamp 1
		.amdhsa_ieee_mode 1
		.amdhsa_fp16_overflow 0
		.amdhsa_workgroup_processor_mode 1
		.amdhsa_memory_ordered 1
		.amdhsa_forward_progress 0
		.amdhsa_shared_vgpr_count 0
		.amdhsa_exception_fp_ieee_invalid_op 0
		.amdhsa_exception_fp_denorm_src 0
		.amdhsa_exception_fp_ieee_div_zero 0
		.amdhsa_exception_fp_ieee_overflow 0
		.amdhsa_exception_fp_ieee_underflow 0
		.amdhsa_exception_fp_ieee_inexact 0
		.amdhsa_exception_int_div_zero 0
	.end_amdhsa_kernel
	.section	.text._Z17reduce_cross_termIdEvPT_PKS0_iii,"axG",@progbits,_Z17reduce_cross_termIdEvPT_PKS0_iii,comdat
.Lfunc_end3:
	.size	_Z17reduce_cross_termIdEvPT_PKS0_iii, .Lfunc_end3-_Z17reduce_cross_termIdEvPT_PKS0_iii
                                        ; -- End function
	.section	.AMDGPU.csdata,"",@progbits
; Kernel info:
; codeLenInByte = 472
; NumSgprs: 9
; NumVgprs: 7
; ScratchSize: 0
; MemoryBound: 0
; FloatMode: 240
; IeeeMode: 1
; LDSByteSize: 8 bytes/workgroup (compile time only)
; SGPRBlocks: 1
; VGPRBlocks: 0
; NumSGPRsForWavesPerEU: 9
; NumVGPRsForWavesPerEU: 7
; Occupancy: 16
; WaveLimiterHint : 0
; COMPUTE_PGM_RSRC2:SCRATCH_EN: 0
; COMPUTE_PGM_RSRC2:USER_SGPR: 15
; COMPUTE_PGM_RSRC2:TRAP_HANDLER: 0
; COMPUTE_PGM_RSRC2:TGID_X_EN: 1
; COMPUTE_PGM_RSRC2:TGID_Y_EN: 0
; COMPUTE_PGM_RSRC2:TGID_Z_EN: 0
; COMPUTE_PGM_RSRC2:TIDIG_COMP_CNT: 0
	.text
	.p2alignl 7, 3214868480
	.fill 96, 4, 3214868480
	.type	__hip_cuid_4f2d1cf1daafab33,@object ; @__hip_cuid_4f2d1cf1daafab33
	.section	.bss,"aw",@nobits
	.globl	__hip_cuid_4f2d1cf1daafab33
__hip_cuid_4f2d1cf1daafab33:
	.byte	0                               ; 0x0
	.size	__hip_cuid_4f2d1cf1daafab33, 1

	.ident	"AMD clang version 19.0.0git (https://github.com/RadeonOpenCompute/llvm-project roc-6.4.0 25133 c7fe45cf4b819c5991fe208aaa96edf142730f1d)"
	.section	".note.GNU-stack","",@progbits
	.addrsig
	.addrsig_sym __hip_cuid_4f2d1cf1daafab33
	.amdgpu_metadata
---
amdhsa.kernels:
  - .args:
      - .actual_access:  read_only
        .address_space:  global
        .offset:         0
        .size:           8
        .value_kind:     global_buffer
      - .actual_access:  read_only
        .address_space:  global
        .offset:         8
        .size:           8
        .value_kind:     global_buffer
      - .offset:         16
        .size:           4
        .value_kind:     by_value
      - .offset:         20
        .size:           4
        .value_kind:     by_value
      - .actual_access:  read_only
        .address_space:  global
        .offset:         24
        .size:           8
        .value_kind:     global_buffer
      - .actual_access:  read_only
        .address_space:  global
        .offset:         32
        .size:           8
        .value_kind:     global_buffer
      - .actual_access:  write_only
        .address_space:  global
        .offset:         40
        .size:           8
        .value_kind:     global_buffer
      - .offset:         48
        .size:           4
        .value_kind:     hidden_block_count_x
      - .offset:         52
        .size:           4
        .value_kind:     hidden_block_count_y
      - .offset:         56
        .size:           4
        .value_kind:     hidden_block_count_z
      - .offset:         60
        .size:           2
        .value_kind:     hidden_group_size_x
      - .offset:         62
        .size:           2
        .value_kind:     hidden_group_size_y
      - .offset:         64
        .size:           2
        .value_kind:     hidden_group_size_z
      - .offset:         66
        .size:           2
        .value_kind:     hidden_remainder_x
      - .offset:         68
        .size:           2
        .value_kind:     hidden_remainder_y
      - .offset:         70
        .size:           2
        .value_kind:     hidden_remainder_z
      - .offset:         88
        .size:           8
        .value_kind:     hidden_global_offset_x
      - .offset:         96
        .size:           8
        .value_kind:     hidden_global_offset_y
      - .offset:         104
        .size:           8
        .value_kind:     hidden_global_offset_z
      - .offset:         112
        .size:           2
        .value_kind:     hidden_grid_dims
    .group_segment_fixed_size: 1924
    .kernarg_segment_align: 8
    .kernarg_segment_size: 304
    .language:       OpenCL C
    .language_version:
      - 2
      - 0
    .max_flat_workgroup_size: 1024
    .name:           _Z8distanceIfEvPKT_S2_iiS2_S2_PS0_
    .private_segment_fixed_size: 0
    .sgpr_count:     18
    .sgpr_spill_count: 0
    .symbol:         _Z8distanceIfEvPKT_S2_iiS2_S2_PS0_.kd
    .uniform_work_group_size: 1
    .uses_dynamic_stack: false
    .vgpr_count:     17
    .vgpr_spill_count: 0
    .wavefront_size: 32
    .workgroup_processor_mode: 1
  - .args:
      - .actual_access:  write_only
        .address_space:  global
        .offset:         0
        .size:           8
        .value_kind:     global_buffer
      - .actual_access:  read_only
        .address_space:  global
        .offset:         8
        .size:           8
        .value_kind:     global_buffer
      - .offset:         16
        .size:           4
        .value_kind:     by_value
      - .offset:         20
        .size:           4
        .value_kind:     by_value
      - .offset:         24
        .size:           4
        .value_kind:     by_value
    .group_segment_fixed_size: 4
    .kernarg_segment_align: 8
    .kernarg_segment_size: 28
    .language:       OpenCL C
    .language_version:
      - 2
      - 0
    .max_flat_workgroup_size: 1024
    .name:           _Z17reduce_cross_termIfEvPT_PKS0_iii
    .private_segment_fixed_size: 0
    .sgpr_count:     9
    .sgpr_spill_count: 0
    .symbol:         _Z17reduce_cross_termIfEvPT_PKS0_iii.kd
    .uniform_work_group_size: 1
    .uses_dynamic_stack: false
    .vgpr_count:     5
    .vgpr_spill_count: 0
    .wavefront_size: 32
    .workgroup_processor_mode: 1
  - .args:
      - .actual_access:  read_only
        .address_space:  global
        .offset:         0
        .size:           8
        .value_kind:     global_buffer
      - .actual_access:  read_only
        .address_space:  global
        .offset:         8
        .size:           8
        .value_kind:     global_buffer
      - .offset:         16
        .size:           4
        .value_kind:     by_value
      - .offset:         20
        .size:           4
        .value_kind:     by_value
      - .actual_access:  read_only
        .address_space:  global
        .offset:         24
        .size:           8
        .value_kind:     global_buffer
      - .actual_access:  read_only
        .address_space:  global
        .offset:         32
        .size:           8
        .value_kind:     global_buffer
      - .actual_access:  write_only
        .address_space:  global
        .offset:         40
        .size:           8
        .value_kind:     global_buffer
      - .offset:         48
        .size:           4
        .value_kind:     hidden_block_count_x
      - .offset:         52
        .size:           4
        .value_kind:     hidden_block_count_y
      - .offset:         56
        .size:           4
        .value_kind:     hidden_block_count_z
      - .offset:         60
        .size:           2
        .value_kind:     hidden_group_size_x
      - .offset:         62
        .size:           2
        .value_kind:     hidden_group_size_y
      - .offset:         64
        .size:           2
        .value_kind:     hidden_group_size_z
      - .offset:         66
        .size:           2
        .value_kind:     hidden_remainder_x
      - .offset:         68
        .size:           2
        .value_kind:     hidden_remainder_y
      - .offset:         70
        .size:           2
        .value_kind:     hidden_remainder_z
      - .offset:         88
        .size:           8
        .value_kind:     hidden_global_offset_x
      - .offset:         96
        .size:           8
        .value_kind:     hidden_global_offset_y
      - .offset:         104
        .size:           8
        .value_kind:     hidden_global_offset_z
      - .offset:         112
        .size:           2
        .value_kind:     hidden_grid_dims
    .group_segment_fixed_size: 3848
    .kernarg_segment_align: 8
    .kernarg_segment_size: 304
    .language:       OpenCL C
    .language_version:
      - 2
      - 0
    .max_flat_workgroup_size: 1024
    .name:           _Z8distanceIdEvPKT_S2_iiS2_S2_PS0_
    .private_segment_fixed_size: 0
    .sgpr_count:     20
    .sgpr_spill_count: 0
    .symbol:         _Z8distanceIdEvPKT_S2_iiS2_S2_PS0_.kd
    .uniform_work_group_size: 1
    .uses_dynamic_stack: false
    .vgpr_count:     21
    .vgpr_spill_count: 0
    .wavefront_size: 32
    .workgroup_processor_mode: 1
  - .args:
      - .actual_access:  write_only
        .address_space:  global
        .offset:         0
        .size:           8
        .value_kind:     global_buffer
      - .actual_access:  read_only
        .address_space:  global
        .offset:         8
        .size:           8
        .value_kind:     global_buffer
      - .offset:         16
        .size:           4
        .value_kind:     by_value
      - .offset:         20
        .size:           4
        .value_kind:     by_value
      - .offset:         24
        .size:           4
        .value_kind:     by_value
    .group_segment_fixed_size: 8
    .kernarg_segment_align: 8
    .kernarg_segment_size: 28
    .language:       OpenCL C
    .language_version:
      - 2
      - 0
    .max_flat_workgroup_size: 1024
    .name:           _Z17reduce_cross_termIdEvPT_PKS0_iii
    .private_segment_fixed_size: 0
    .sgpr_count:     9
    .sgpr_spill_count: 0
    .symbol:         _Z17reduce_cross_termIdEvPT_PKS0_iii.kd
    .uniform_work_group_size: 1
    .uses_dynamic_stack: false
    .vgpr_count:     7
    .vgpr_spill_count: 0
    .wavefront_size: 32
    .workgroup_processor_mode: 1
amdhsa.target:   amdgcn-amd-amdhsa--gfx1100
amdhsa.version:
  - 1
  - 2
...

	.end_amdgpu_metadata
